;; amdgpu-corpus repo=ROCm/rocFFT kind=compiled arch=gfx1030 opt=O3
	.text
	.amdgcn_target "amdgcn-amd-amdhsa--gfx1030"
	.amdhsa_code_object_version 6
	.protected	bluestein_single_back_len1632_dim1_sp_op_CI_CI ; -- Begin function bluestein_single_back_len1632_dim1_sp_op_CI_CI
	.globl	bluestein_single_back_len1632_dim1_sp_op_CI_CI
	.p2align	8
	.type	bluestein_single_back_len1632_dim1_sp_op_CI_CI,@function
bluestein_single_back_len1632_dim1_sp_op_CI_CI: ; @bluestein_single_back_len1632_dim1_sp_op_CI_CI
; %bb.0:
	s_mov_b64 s[22:23], s[2:3]
	s_mov_b64 s[20:21], s[0:1]
	s_load_dwordx4 s[0:3], s[4:5], 0x28
	v_mul_u32_u24_e32 v1, 0x283, v0
	v_mov_b32_e32 v243, 0
	s_add_u32 s20, s20, s7
	s_addc_u32 s21, s21, 0
	v_lshrrev_b32_e32 v1, 16, v1
	v_add_nc_u32_e32 v242, s6, v1
	s_waitcnt lgkmcnt(0)
	v_cmp_gt_u64_e32 vcc_lo, s[0:1], v[242:243]
	s_and_saveexec_b32 s0, vcc_lo
	s_cbranch_execz .LBB0_23
; %bb.1:
	v_mul_lo_u16 v1, 0x66, v1
	s_clause 0x1
	s_load_dwordx2 s[12:13], s[4:5], 0x0
	s_load_dwordx2 s[14:15], s[4:5], 0x38
	v_sub_nc_u16 v0, v0, v1
	v_and_b32_e32 v128, 0xffff, v0
	v_cmp_gt_u16_e32 vcc_lo, 0x60, v0
	v_lshlrev_b32_e32 v124, 3, v128
	v_or_b32_e32 v241, 0x180, v128
	v_or_b32_e32 v240, 0x300, v128
	;; [unrolled: 1-line block ×4, first 2 shown]
	s_and_saveexec_b32 s1, vcc_lo
	s_cbranch_execz .LBB0_3
; %bb.2:
	s_load_dwordx2 s[6:7], s[4:5], 0x18
	s_waitcnt lgkmcnt(0)
	v_add_co_u32 v62, s0, s12, v124
	v_add_co_ci_u32_e64 v63, null, s13, 0, s0
	v_lshlrev_b32_e32 v8, 3, v241
	v_add_co_u32 v0, s0, 0x800, v62
	v_add_co_ci_u32_e64 v1, s0, 0, v63, s0
	v_lshlrev_b32_e32 v36, 3, v240
	v_lshlrev_b32_e32 v37, 3, v239
	;; [unrolled: 1-line block ×3, first 2 shown]
	v_add_nc_u32_e32 v74, 0x400, v124
	v_add_nc_u32_e32 v75, 0x800, v124
	;; [unrolled: 1-line block ×7, first 2 shown]
	s_load_dwordx4 s[8:11], s[6:7], 0x0
	s_clause 0x5
	global_load_dwordx2 v[2:3], v124, s[12:13]
	global_load_dwordx2 v[4:5], v124, s[12:13] offset:768
	global_load_dwordx2 v[6:7], v124, s[12:13] offset:1536
	global_load_dwordx2 v[8:9], v8, s[12:13]
	global_load_dwordx2 v[10:11], v[0:1], off offset:256
	global_load_dwordx2 v[0:1], v[0:1], off offset:1792
	s_waitcnt lgkmcnt(0)
	v_mad_u64_u32 v[12:13], null, s10, v242, 0
	v_mad_u64_u32 v[14:15], null, s8, v128, 0
	;; [unrolled: 1-line block ×4, first 2 shown]
	s_mul_i32 s0, s9, 0x300
	s_mul_hi_u32 s10, s8, 0x300
	v_mad_u64_u32 v[24:25], null, s11, v242, v[13:14]
	v_mad_u64_u32 v[25:26], null, s9, v128, v[15:16]
	;; [unrolled: 1-line block ×3, first 2 shown]
	s_add_i32 s10, s10, s0
	v_mad_u64_u32 v[22:23], null, s8, v238, 0
	v_mov_b32_e32 v13, v24
	v_mov_b32_e32 v15, v25
	v_mad_u64_u32 v[20:21], null, s8, v239, 0
	v_mov_b32_e32 v17, v26
	v_lshlrev_b64 v[12:13], 3, v[12:13]
	v_lshlrev_b64 v[14:15], 3, v[14:15]
	s_mul_i32 s6, s8, 0x300
	v_mad_u64_u32 v[23:24], null, s9, v238, v[23:24]
	v_mad_u64_u32 v[27:28], null, s9, v240, v[19:20]
	v_add_co_u32 v34, s0, s2, v12
	v_add_co_ci_u32_e64 v35, s0, s3, v13, s0
	v_mad_u64_u32 v[28:29], null, s9, v239, v[21:22]
	v_add_co_u32 v12, s0, v34, v14
	v_add_co_ci_u32_e64 v13, s0, v35, v15, s0
	v_lshlrev_b64 v[14:15], 3, v[16:17]
	v_add_co_u32 v16, s0, v12, s6
	v_add_co_ci_u32_e64 v17, s0, s10, v13, s0
	v_mov_b32_e32 v19, v27
	v_add_co_u32 v24, s0, v16, s6
	v_add_co_ci_u32_e64 v25, s0, s10, v17, s0
	v_add_co_u32 v14, s0, v34, v14
	v_add_co_ci_u32_e64 v15, s0, v35, v15, s0
	;; [unrolled: 2-line block ×3, first 2 shown]
	s_mul_i32 s16, s9, 0x600
	s_mul_hi_u32 s17, s8, 0x600
	s_mul_i32 s7, s8, 0x600
	s_add_i32 s17, s17, s16
	v_mov_b32_e32 v21, v28
	v_add_co_u32 v28, s0, v26, s7
	v_lshlrev_b64 v[18:19], 3, v[18:19]
	v_add_co_ci_u32_e64 v29, s0, s17, v27, s0
	s_clause 0x5
	global_load_dwordx2 v[14:15], v[14:15], off
	global_load_dwordx2 v[12:13], v[12:13], off
	;; [unrolled: 1-line block ×6, first 2 shown]
	v_add_co_u32 v28, s0, v28, s6
	v_add_co_ci_u32_e64 v29, s0, s10, v29, s0
	v_add_co_u32 v18, s0, v34, v18
	v_lshlrev_b64 v[20:21], 3, v[20:21]
	v_add_co_ci_u32_e64 v19, s0, v35, v19, s0
	v_add_co_u32 v32, s0, v28, s6
	v_lshlrev_b64 v[22:23], 3, v[22:23]
	v_add_co_ci_u32_e64 v33, s0, s10, v29, s0
	v_add_co_u32 v20, s0, v34, v20
	v_add_co_ci_u32_e64 v21, s0, v35, v21, s0
	v_add_co_u32 v22, s0, v34, v22
	;; [unrolled: 2-line block ×4, first 2 shown]
	v_add_co_ci_u32_e64 v43, s0, s17, v33, s0
	global_load_dwordx2 v[18:19], v[18:19], off
	global_load_dwordx2 v[34:35], v36, s[12:13]
	global_load_dwordx2 v[20:21], v[20:21], off
	global_load_dwordx2 v[36:37], v37, s[12:13]
	;; [unrolled: 2-line block ×3, first 2 shown]
	global_load_dwordx2 v[28:29], v[28:29], off
	global_load_dwordx2 v[32:33], v[32:33], off
	s_clause 0x1
	global_load_dwordx2 v[44:45], v[40:41], off offset:512
	global_load_dwordx2 v[40:41], v[40:41], off offset:1280
	global_load_dwordx2 v[46:47], v[42:43], off
	v_add_co_u32 v42, s0, v42, s6
	v_add_co_ci_u32_e64 v43, s0, s10, v43, s0
	v_add_co_u32 v48, s0, 0x1800, v62
	v_add_co_ci_u32_e64 v49, s0, 0, v63, s0
	;; [unrolled: 2-line block ×3, first 2 shown]
	global_load_dwordx2 v[42:43], v[42:43], off
	v_add_co_u32 v52, s0, v50, s7
	v_add_co_ci_u32_e64 v53, s0, s17, v51, s0
	v_add_co_u32 v54, s0, 0x2000, v62
	v_add_co_ci_u32_e64 v55, s0, 0, v63, s0
	s_clause 0x1
	global_load_dwordx2 v[56:57], v[48:49], off offset:768
	global_load_dwordx2 v[48:49], v[48:49], off offset:1536
	global_load_dwordx2 v[50:51], v[50:51], off
	global_load_dwordx2 v[58:59], v[52:53], off
	s_clause 0x1
	global_load_dwordx2 v[60:61], v[54:55], off offset:256
	global_load_dwordx2 v[54:55], v[54:55], off offset:1792
	v_add_co_u32 v52, s0, v52, s6
	v_add_co_ci_u32_e64 v53, s0, s10, v53, s0
	v_add_co_u32 v62, s0, 0x2800, v62
	v_add_co_ci_u32_e64 v63, s0, 0, v63, s0
	v_add_co_u32 v64, s0, v52, s6
	v_add_co_ci_u32_e64 v65, s0, s10, v53, s0
	global_load_dwordx2 v[52:53], v[52:53], off
	s_clause 0x1
	global_load_dwordx2 v[66:67], v[62:63], off offset:512
	global_load_dwordx2 v[62:63], v[62:63], off offset:1280
	global_load_dwordx2 v[64:65], v[64:65], off
	s_waitcnt vmcnt(26)
	v_mul_f32_e32 v68, v13, v3
	v_mul_f32_e32 v3, v12, v3
	v_mul_f32_e32 v70, v15, v9
	v_mul_f32_e32 v9, v14, v9
	v_fmac_f32_e32 v68, v12, v2
	v_fma_f32 v69, v13, v2, -v3
	s_waitcnt vmcnt(25)
	v_mul_f32_e32 v2, v17, v5
	v_mul_f32_e32 v3, v16, v5
	v_fma_f32 v71, v15, v8, -v9
	v_fmac_f32_e32 v70, v14, v8
	s_waitcnt vmcnt(24)
	v_mul_f32_e32 v5, v25, v7
	v_fmac_f32_e32 v2, v16, v4
	v_fma_f32 v3, v17, v4, -v3
	v_mul_f32_e32 v4, v24, v7
	s_waitcnt vmcnt(23)
	v_mul_f32_e32 v7, v27, v11
	v_mul_f32_e32 v8, v26, v11
	s_waitcnt vmcnt(22)
	v_mul_f32_e32 v9, v31, v1
	v_mul_f32_e32 v1, v30, v1
	v_fmac_f32_e32 v5, v24, v6
	v_fma_f32 v6, v25, v6, -v4
	v_fmac_f32_e32 v7, v26, v10
	v_fma_f32 v8, v27, v10, -v8
	;; [unrolled: 2-line block ×3, first 2 shown]
	ds_write2_b64 v124, v[68:69], v[2:3] offset1:96
	ds_write2_b64 v74, v[5:6], v[7:8] offset0:64 offset1:160
	ds_write2_b64 v75, v[70:71], v[9:10] offset0:128 offset1:224
	s_waitcnt vmcnt(18)
	v_mul_f32_e32 v82, v20, v37
	s_waitcnt vmcnt(13)
	v_mul_f32_e32 v0, v29, v45
	v_mul_f32_e32 v1, v28, v45
	s_waitcnt vmcnt(12)
	v_mul_f32_e32 v2, v33, v41
	v_mul_f32_e32 v3, v32, v41
	;; [unrolled: 1-line block ×7, first 2 shown]
	v_fmac_f32_e32 v0, v28, v44
	v_fma_f32 v1, v29, v44, -v1
	v_fmac_f32_e32 v2, v32, v40
	v_fma_f32 v3, v33, v40, -v3
	;; [unrolled: 2-line block ×5, first 2 shown]
	s_waitcnt vmcnt(9)
	v_mul_f32_e32 v4, v47, v57
	v_mul_f32_e32 v5, v46, v57
	s_waitcnt vmcnt(8)
	v_mul_f32_e32 v6, v43, v49
	v_mul_f32_e32 v7, v42, v49
	;; [unrolled: 3-line block ×4, first 2 shown]
	v_fmac_f32_e32 v4, v46, v56
	v_fma_f32 v5, v47, v56, -v5
	v_fmac_f32_e32 v6, v42, v48
	v_fma_f32 v7, v43, v48, -v7
	;; [unrolled: 2-line block ×4, first 2 shown]
	s_waitcnt vmcnt(2)
	v_mul_f32_e32 v12, v53, v67
	v_mul_f32_e32 v13, v52, v67
	s_waitcnt vmcnt(0)
	v_mul_f32_e32 v14, v65, v63
	v_mul_f32_e32 v15, v64, v63
	v_fmac_f32_e32 v12, v52, v66
	v_fma_f32 v13, v53, v66, -v13
	v_fmac_f32_e32 v14, v64, v62
	v_fma_f32 v15, v65, v62, -v15
	ds_write2_b64 v76, v[0:1], v[2:3] offset0:64 offset1:160
	ds_write2_b64 v77, v[72:73], v[4:5] offset1:96
	ds_write2_b64 v78, v[6:7], v[8:9] offset0:64 offset1:160
	ds_write2_b64 v79, v[35:36], v[10:11] offset0:128 offset1:224
	;; [unrolled: 1-line block ×3, first 2 shown]
	ds_write_b64 v124, v[37:38] offset:12288
.LBB0_3:
	s_or_b32 exec_lo, exec_lo, s1
	s_clause 0x1
	s_load_dwordx2 s[0:1], s[4:5], 0x20
	s_load_dwordx2 s[2:3], s[4:5], 0x8
	v_mov_b32_e32 v0, 0
	v_mov_b32_e32 v1, 0
	s_waitcnt lgkmcnt(0)
	s_barrier
	buffer_gl0_inv
                                        ; implicit-def: $vgpr6
                                        ; implicit-def: $vgpr32
                                        ; implicit-def: $vgpr10
                                        ; implicit-def: $vgpr14
                                        ; implicit-def: $vgpr22
                                        ; implicit-def: $vgpr26
                                        ; implicit-def: $vgpr18
                                        ; implicit-def: $vgpr30
                                        ; kill: def $vgpr2 killed $sgpr0 killed $exec
	s_and_saveexec_b32 s4, vcc_lo
	s_cbranch_execz .LBB0_5
; %bb.4:
	v_add_nc_u32_e32 v4, 0x400, v124
	v_add_nc_u32_e32 v5, 0x800, v124
	v_add_nc_u32_e32 v6, 0x1000, v124
	ds_read2_b64 v[0:3], v124 offset1:96
	v_add_nc_u32_e32 v7, 0x2000, v124
	ds_read2_b64 v[28:31], v4 offset0:64 offset1:160
	ds_read2_b64 v[16:19], v5 offset0:128 offset1:224
	v_add_nc_u32_e32 v4, 0x1800, v124
	v_add_nc_u32_e32 v5, 0x1c00, v124
	v_add_nc_u32_e32 v32, 0x2800, v124
	ds_read2_b64 v[24:27], v6 offset0:64 offset1:160
	ds_read2_b64 v[20:23], v4 offset1:96
	ds_read2_b64 v[12:15], v5 offset0:64 offset1:160
	ds_read2_b64 v[8:11], v7 offset0:128 offset1:224
	;; [unrolled: 1-line block ×3, first 2 shown]
	ds_read_b64 v[32:33], v124 offset:12288
.LBB0_5:
	s_or_b32 exec_lo, exec_lo, s4
	s_waitcnt lgkmcnt(0)
	v_sub_f32_e32 v61, v3, v33
	v_sub_f32_e32 v77, v2, v32
	v_add_f32_e32 v34, v32, v2
	v_add_f32_e32 v38, v33, v3
	v_sub_f32_e32 v63, v29, v7
	v_mul_f32_e32 v50, 0xbeb8f4ab, v61
	v_mul_f32_e32 v58, 0xbeb8f4ab, v77
	v_add_f32_e32 v35, v6, v28
	v_sub_f32_e32 v78, v28, v6
	v_mul_f32_e32 v51, 0xbf2c7751, v63
	v_fmamk_f32 v37, v34, 0x3f6eb680, v50
	v_fma_f32 v39, 0x3f6eb680, v38, -v58
	v_add_f32_e32 v36, v7, v29
	v_mul_f32_e32 v62, 0xbf2c7751, v78
	v_sub_f32_e32 v69, v31, v5
	v_add_f32_e32 v40, v37, v0
	v_add_f32_e32 v41, v39, v1
	v_fmamk_f32 v39, v35, 0x3f3d2fb0, v51
	v_sub_f32_e32 v79, v30, v4
	v_fma_f32 v42, 0x3f3d2fb0, v36, -v62
	v_add_f32_e32 v37, v4, v30
	v_mul_f32_e32 v54, 0xbf65296c, v69
	v_add_f32_e32 v43, v39, v40
	v_add_f32_e32 v39, v5, v31
	v_mul_f32_e32 v64, 0xbf65296c, v79
	v_sub_f32_e32 v75, v17, v11
	v_add_f32_e32 v42, v42, v41
	v_fmamk_f32 v44, v37, 0x3ee437d1, v54
	v_sub_f32_e32 v81, v16, v10
	v_fma_f32 v45, 0x3ee437d1, v39, -v64
	v_add_f32_e32 v40, v10, v16
	v_mul_f32_e32 v55, 0xbf7ee86f, v75
	v_add_f32_e32 v41, v11, v17
	v_mul_f32_e32 v65, 0xbf7ee86f, v81
	v_add_f32_e32 v43, v44, v43
	v_add_f32_e32 v44, v45, v42
	v_sub_f32_e32 v70, v19, v9
	v_fmamk_f32 v45, v40, 0x3dbcf732, v55
	v_sub_f32_e32 v82, v18, v8
	v_fma_f32 v46, 0x3dbcf732, v41, -v65
	v_add_f32_e32 v42, v8, v18
	v_mul_f32_e32 v56, 0xbf763a35, v70
	v_add_f32_e32 v47, v45, v43
	v_add_f32_e32 v43, v9, v19
	v_mul_f32_e32 v72, 0xbf763a35, v82
	v_sub_f32_e32 v71, v25, v15
	v_add_f32_e32 v46, v46, v44
	v_fmamk_f32 v48, v42, 0xbe8c1d8e, v56
	v_sub_f32_e32 v83, v24, v14
	v_fma_f32 v49, 0xbe8c1d8e, v43, -v72
	v_add_f32_e32 v44, v14, v24
	v_mul_f32_e32 v57, 0xbf4c4adb, v71
	v_add_f32_e32 v45, v15, v25
	v_mul_f32_e32 v66, 0xbf4c4adb, v83
	v_add_f32_e32 v47, v48, v47
	v_add_f32_e32 v48, v49, v46
	v_sub_f32_e32 v59, v27, v13
	v_fmamk_f32 v49, v44, 0xbf1a4643, v57
	v_sub_f32_e32 v84, v26, v12
	v_fma_f32 v52, 0xbf1a4643, v45, -v66
	v_add_f32_e32 v46, v12, v26
	v_mul_f32_e32 v60, 0xbf06c442, v59
	v_add_f32_e32 v53, v49, v47
	v_add_f32_e32 v47, v13, v27
	v_mul_f32_e32 v74, 0xbf06c442, v84
	v_sub_f32_e32 v68, v21, v23
	v_sub_f32_e32 v76, v20, v22
	v_add_f32_e32 v52, v52, v48
	v_fmamk_f32 v85, v46, 0xbf59a7d5, v60
	v_fma_f32 v86, 0xbf59a7d5, v47, -v74
	v_add_f32_e32 v48, v22, v20
	v_add_f32_e32 v49, v23, v21
	v_mul_f32_e32 v67, 0xbe3c28d5, v68
	v_mul_f32_e32 v73, 0xbe3c28d5, v76
	v_add_f32_e32 v53, v85, v53
	v_add_f32_e32 v85, v86, v52
	v_fmamk_f32 v52, v48, 0xbf7ba420, v67
	v_fma_f32 v86, 0xbf7ba420, v49, -v73
	s_barrier
	buffer_gl0_inv
	v_add_f32_e32 v52, v52, v53
	v_add_f32_e32 v53, v86, v85
	s_and_saveexec_b32 s4, vcc_lo
	s_cbranch_execz .LBB0_7
; %bb.6:
	v_mul_f32_e32 v85, 0x3ee437d1, v38
	v_add_f32_e32 v2, v2, v0
	v_add_f32_e32 v3, v3, v1
	v_mul_f32_e32 v88, 0xbf1a4643, v36
	v_mul_f32_e32 v87, 0xbf7ba420, v39
	v_fmamk_f32 v86, v77, 0x3f65296c, v85
	v_add_f32_e32 v2, v28, v2
	v_add_f32_e32 v3, v29, v3
	v_fmamk_f32 v28, v78, 0x3f4c4adb, v88
	v_mul_f32_e32 v91, 0xbf65296c, v61
	v_add_f32_e32 v29, v86, v1
	v_add_f32_e32 v2, v30, v2
	;; [unrolled: 1-line block ×3, first 2 shown]
	v_mul_f32_e32 v86, 0xbe8c1d8e, v41
	v_fmamk_f32 v31, v79, 0xbe3c28d5, v87
	v_add_f32_e32 v28, v28, v29
	v_add_f32_e32 v2, v16, v2
	v_mul_f32_e32 v92, 0xbf4c4adb, v63
	v_fmamk_f32 v16, v34, 0x3ee437d1, v91
	v_mul_f32_e32 v30, 0x3f3d2fb0, v43
	v_add_f32_e32 v3, v17, v3
	v_fmamk_f32 v17, v81, 0xbf763a35, v86
	v_add_f32_e32 v28, v31, v28
	v_fmamk_f32 v31, v35, 0xbf1a4643, v92
	v_add_f32_e32 v16, v16, v0
	v_mul_f32_e32 v97, 0x3e3c28d5, v69
	v_fmamk_f32 v29, v82, 0xbf2c7751, v30
	v_add_f32_e32 v3, v19, v3
	v_add_f32_e32 v17, v17, v28
	v_mul_f32_e32 v89, 0x3f6eb680, v45
	v_add_f32_e32 v16, v31, v16
	v_fmamk_f32 v19, v37, 0xbf7ba420, v97
	v_mul_f32_e32 v98, 0x3f763a35, v75
	v_add_f32_e32 v2, v18, v2
	v_add_f32_e32 v17, v29, v17
	v_fmamk_f32 v18, v83, 0x3eb8f4ab, v89
	v_add_f32_e32 v16, v19, v16
	v_fmamk_f32 v19, v40, 0xbe8c1d8e, v98
	v_add_f32_e32 v3, v25, v3
	v_add_f32_e32 v2, v24, v2
	v_mul_f32_e32 v106, 0x3f2c7751, v70
	v_add_f32_e32 v17, v18, v17
	v_add_f32_e32 v16, v19, v16
	;; [unrolled: 1-line block ×4, first 2 shown]
	v_fmamk_f32 v18, v42, 0x3f3d2fb0, v106
	v_mul_f32_e32 v93, 0xbeb8f4ab, v71
	v_mul_f32_e32 v90, 0x3dbcf732, v47
	v_add_f32_e32 v3, v21, v3
	v_add_f32_e32 v2, v20, v2
	v_add_f32_e32 v16, v18, v16
	v_fmamk_f32 v18, v44, 0x3f6eb680, v93
	v_mul_f32_e32 v94, 0xbf7ee86f, v59
	v_add_f32_e32 v26, v23, v3
	v_add_f32_e32 v27, v22, v2
	v_fmamk_f32 v2, v84, 0x3f7ee86f, v90
	v_mul_f32_e32 v31, 0xbf59a7d5, v49
	v_add_f32_e32 v3, v18, v16
	v_fmamk_f32 v16, v46, 0x3dbcf732, v94
	v_mul_f32_e32 v95, 0xbf06c442, v68
	;; [unrolled: 3-line block ×76, first 2 shown]
	v_add_f32_e32 v24, v169, v24
	v_fmamk_f32 v169, v42, 0xbf1a4643, v178
	v_fmac_f32_e32 v165, 0xbe3c28d5, v77
	v_add_f32_e32 v22, v173, v22
	v_mul_f32_e32 v173, 0x3f65296c, v71
	v_fmamk_f32 v179, v48, 0xbe8c1d8e, v177
	v_mul_f32_e32 v180, 0x3ee437d1, v45
	v_mul_f32_e32 v183, 0xbf763a35, v59
	v_add_f32_e32 v22, v169, v22
	v_fmamk_f32 v169, v44, 0x3ee437d1, v173
	v_add_f32_e32 v165, v165, v1
	v_fmac_f32_e32 v167, 0x3eb8f4ab, v78
	v_fmamk_f32 v181, v83, 0xbf65296c, v180
	v_mul_f32_e32 v182, 0xbe8c1d8e, v47
	v_add_f32_e32 v169, v169, v22
	v_add_f32_e32 v22, v179, v25
	v_fma_f32 v25, 0xbf7ba420, v34, -v168
	v_fmamk_f32 v184, v46, 0xbe8c1d8e, v183
	v_add_f32_e32 v165, v167, v165
	v_fmac_f32_e32 v170, 0xbf06c442, v79
	v_fma_f32 v168, 0x3f6eb680, v35, -v171
	v_add_f32_e32 v25, v25, v0
	v_add_f32_e32 v24, v181, v24
	v_fmamk_f32 v181, v84, 0x3f763a35, v182
	v_add_f32_e32 v167, v184, v169
	v_add_f32_e32 v165, v170, v165
	v_fmac_f32_e32 v172, 0x3f2c7751, v81
	v_mul_f32_e32 v169, 0x3dbcf732, v49
	v_mul_f32_e32 v170, 0x3f7ee86f, v68
	v_add_f32_e32 v25, v168, v25
	v_fma_f32 v168, 0xbf59a7d5, v37, -v174
	v_fmac_f32_e32 v113, 0xbf06c442, v77
	v_add_f32_e32 v24, v181, v24
	v_add_f32_e32 v165, v172, v165
	v_fmamk_f32 v171, v76, 0xbf7ee86f, v169
	v_fmamk_f32 v172, v48, 0x3dbcf732, v170
	v_add_f32_e32 v168, v168, v25
	v_fma_f32 v174, 0x3f3d2fb0, v40, -v176
	v_add_f32_e32 v113, v113, v1
	v_fmac_f32_e32 v153, 0x3f65296c, v78
	v_add_f32_e32 v25, v171, v24
	v_add_f32_e32 v24, v172, v167
	;; [unrolled: 1-line block ×3, first 2 shown]
	v_fma_f32 v168, 0xbf1a4643, v42, -v178
	v_add_f32_e32 v113, v153, v113
	v_fmac_f32_e32 v155, 0xbf7ee86f, v79
	v_fma_f32 v114, 0xbf59a7d5, v34, -v114
	v_fmac_f32_e32 v157, 0x3f4c4adb, v81
	v_add_f32_e32 v167, v168, v167
	v_fma_f32 v168, 0x3ee437d1, v44, -v173
	v_add_f32_e32 v113, v155, v113
	v_fmac_f32_e32 v116, 0xbf4c4adb, v77
	v_add_f32_e32 v114, v114, v0
	v_fma_f32 v153, 0x3ee437d1, v35, -v154
	v_add_f32_e32 v154, v168, v167
	v_fma_f32 v167, 0xbe8c1d8e, v46, -v183
	v_add_f32_e32 v113, v157, v113
	v_fmac_f32_e32 v159, 0xbeb8f4ab, v82
	v_add_f32_e32 v116, v116, v1
	v_fmac_f32_e32 v139, 0x3f763a35, v78
	v_add_f32_e32 v114, v153, v114
	v_fma_f32 v153, 0x3dbcf732, v37, -v156
	v_add_f32_e32 v154, v167, v154
	v_fma_f32 v156, 0x3dbcf732, v48, -v170
	v_add_f32_e32 v157, v159, v113
	v_fmac_f32_e32 v161, 0xbe3c28d5, v83
	v_fma_f32 v138, 0xbf1a4643, v34, -v138
	v_add_f32_e32 v116, v139, v116
	v_fmac_f32_e32 v141, 0xbeb8f4ab, v79
	v_add_f32_e32 v113, v156, v154
	v_add_f32_e32 v154, v161, v157
	v_fmac_f32_e32 v163, 0x3f2c7751, v84
	v_add_f32_e32 v138, v138, v0
	v_fma_f32 v139, 0xbe8c1d8e, v35, -v140
	v_add_f32_e32 v116, v141, v116
	v_fmac_f32_e32 v143, 0xbf06c442, v81
	v_add_f32_e32 v140, v163, v154
	v_fmac_f32_e32 v166, 0xbf763a35, v76
	v_add_f32_e32 v138, v139, v138
	v_fma_f32 v139, 0x3f6eb680, v37, -v142
	v_add_f32_e32 v142, v143, v116
	v_fmac_f32_e32 v145, 0x3f7ee86f, v82
	v_fmac_f32_e32 v115, 0xbf763a35, v77
	v_add_f32_e32 v116, v166, v140
	v_fmac_f32_e32 v118, 0x3f06c442, v78
	v_add_f32_e32 v138, v139, v138
	v_add_f32_e32 v140, v145, v142
	;; [unrolled: 1-line block ×3, first 2 shown]
	v_fma_f32 v139, 0xbf59a7d5, v40, -v144
	v_fmac_f32_e32 v120, 0x3f2c7751, v79
	v_fmac_f32_e32 v85, 0xbf65296c, v77
	;; [unrolled: 1-line block ×3, first 2 shown]
	v_add_f32_e32 v118, v118, v142
	v_add_f32_e32 v138, v139, v138
	v_fma_f32 v139, 0x3dbcf732, v42, -v146
	v_fma_f32 v117, 0xbe8c1d8e, v34, -v117
	v_fmac_f32_e32 v122, 0xbf65296c, v81
	v_add_f32_e32 v118, v120, v118
	v_fma_f32 v91, 0x3ee437d1, v34, -v91
	v_add_f32_e32 v85, v85, v1
	v_fmac_f32_e32 v88, 0xbf4c4adb, v78
	v_add_f32_e32 v140, v147, v140
	v_add_f32_e32 v138, v139, v138
	v_fma_f32 v139, 0x3f3d2fb0, v44, -v148
	v_fmac_f32_e32 v149, 0xbe3c28d5, v84
	v_add_f32_e32 v117, v117, v0
	v_fma_f32 v119, 0xbf59a7d5, v35, -v119
	v_add_f32_e32 v118, v122, v118
	v_fmac_f32_e32 v130, 0xbe3c28d5, v82
	v_add_f32_e32 v91, v91, v0
	v_fma_f32 v92, 0xbf1a4643, v35, -v92
	v_add_f32_e32 v85, v88, v85
	;; [unrolled: 4-line block ×3, first 2 shown]
	v_add_f32_e32 v117, v119, v117
	v_fma_f32 v119, 0x3f3d2fb0, v37, -v121
	v_fmac_f32_e32 v151, 0x3f65296c, v76
	v_add_f32_e32 v122, v130, v118
	v_fmac_f32_e32 v132, 0x3f7ee86f, v83
	v_add_f32_e32 v91, v92, v91
	v_fma_f32 v92, 0xbf7ba420, v37, -v97
	v_add_f32_e32 v85, v87, v85
	v_fmac_f32_e32 v86, 0x3f763a35, v81
	v_add_f32_e32 v138, v139, v138
	v_fma_f32 v121, 0x3ee437d1, v48, -v152
	v_add_f32_e32 v119, v119, v117
	v_fma_f32 v129, 0x3ee437d1, v40, -v129
	v_add_f32_e32 v118, v151, v120
	v_add_f32_e32 v120, v132, v122
	v_fmac_f32_e32 v134, 0xbeb8f4ab, v84
	v_add_f32_e32 v91, v92, v91
	v_fma_f32 v92, 0xbe8c1d8e, v40, -v98
	v_add_f32_e32 v85, v86, v85
	v_fmac_f32_e32 v30, 0x3f2c7751, v82
	v_add_f32_e32 v117, v121, v138
	v_add_f32_e32 v119, v129, v119
	v_fma_f32 v121, 0xbf7ba420, v42, -v131
	v_add_f32_e32 v87, v134, v120
	v_fmac_f32_e32 v136, 0xbf4c4adb, v76
	v_add_f32_e32 v91, v92, v91
	v_fma_f32 v92, 0x3f3d2fb0, v42, -v106
	v_add_f32_e32 v30, v30, v85
	v_fmac_f32_e32 v89, 0xbeb8f4ab, v83
	v_add_f32_e32 v119, v121, v119
	v_fma_f32 v121, 0x3dbcf732, v44, -v133
	v_add_f32_e32 v86, v136, v87
	v_add_f32_e32 v85, v92, v91
	v_fma_f32 v87, 0x3f6eb680, v44, -v93
	v_add_f32_e32 v30, v89, v30
	v_fmac_f32_e32 v90, 0xbf7ee86f, v84
	v_add_f32_e32 v88, v121, v119
	v_fma_f32 v119, 0x3f6eb680, v46, -v135
	v_fmac_f32_e32 v108, 0xbf7ee86f, v77
	v_add_f32_e32 v87, v87, v85
	v_fma_f32 v91, 0x3dbcf732, v46, -v94
	v_add_f32_e32 v30, v90, v30
	v_fmac_f32_e32 v31, 0xbf06c442, v76
	v_fma_f32 v90, 0x3dbcf732, v34, -v110
	v_mul_f32_e32 v77, 0xbf2c7751, v77
	v_add_f32_e32 v88, v119, v88
	v_fma_f32 v97, 0xbf1a4643, v48, -v137
	v_add_f32_e32 v89, v108, v1
	v_fmac_f32_e32 v112, 0xbe3c28d5, v78
	v_add_f32_e32 v87, v91, v87
	v_add_f32_e32 v31, v31, v30
	;; [unrolled: 1-line block ×3, first 2 shown]
	v_fma_f32 v90, 0xbf7ba420, v35, -v100
	v_fmamk_f32 v91, v38, 0x3f3d2fb0, v77
	v_mul_f32_e32 v78, 0xbf7ee86f, v78
	v_add_f32_e32 v85, v97, v88
	v_add_f32_e32 v88, v112, v89
	v_fmac_f32_e32 v111, 0x3f763a35, v79
	v_add_f32_e32 v30, v90, v30
	v_fma_f32 v90, 0xbe8c1d8e, v37, -v101
	v_add_f32_e32 v91, v91, v1
	v_fmamk_f32 v92, v36, 0x3dbcf732, v78
	v_mul_f32_e32 v79, 0xbf4c4adb, v79
	v_add_f32_e32 v88, v111, v88
	v_fmac_f32_e32 v109, 0x3eb8f4ab, v81
	v_add_f32_e32 v30, v90, v30
	v_fma_f32 v90, 0x3f6eb680, v40, -v102
	v_add_f32_e32 v91, v92, v91
	v_fmamk_f32 v92, v39, 0xbf1a4643, v79
	v_mul_f32_e32 v81, 0xbe3c28d5, v81
	v_fmac_f32_e32 v175, 0xbf4c4adb, v82
	v_add_f32_e32 v88, v109, v88
	v_fmac_f32_e32 v107, 0xbf65296c, v82
	v_add_f32_e32 v30, v90, v30
	v_fma_f32 v90, 0x3ee437d1, v42, -v103
	v_add_f32_e32 v91, v92, v91
	v_fmamk_f32 v92, v41, 0xbf7ba420, v81
	v_mul_f32_e32 v82, 0x3f06c442, v82
	v_fmac_f32_e32 v180, 0x3f65296c, v83
	v_add_f32_e32 v88, v107, v88
	v_fmac_f32_e32 v99, 0xbf06c442, v83
	v_add_f32_e32 v30, v90, v30
	v_fma_f32 v90, 0xbf59a7d5, v44, -v104
	v_add_f32_e32 v91, v92, v91
	v_fmamk_f32 v92, v43, 0xbf59a7d5, v82
	v_mul_f32_e32 v83, 0x3f763a35, v83
	v_fma_f32 v89, 0xbf59a7d5, v48, -v95
	v_add_f32_e32 v88, v99, v88
	v_fmac_f32_e32 v96, 0x3f4c4adb, v84
	v_add_f32_e32 v90, v90, v30
	v_fma_f32 v93, 0xbf1a4643, v46, -v105
	v_add_f32_e32 v91, v92, v91
	v_fmamk_f32 v92, v45, 0xbe8c1d8e, v83
	v_mul_f32_e32 v61, 0xbf2c7751, v61
	v_add_f32_e32 v30, v89, v87
	v_add_f32_e32 v87, v96, v88
	v_add_f32_e32 v88, v93, v90
	v_add_f32_e32 v89, v92, v91
	v_mul_f32_e32 v90, 0x3f6eb680, v38
	v_fma_f32 v91, 0x3f3d2fb0, v34, -v61
	v_mul_f32_e32 v63, 0xbf7ee86f, v63
	v_mul_f32_e32 v92, 0x3f3d2fb0, v36
	;; [unrolled: 1-line block ×3, first 2 shown]
	v_add_f32_e32 v58, v58, v90
	v_add_f32_e32 v90, v91, v0
	v_fma_f32 v91, 0x3dbcf732, v35, -v63
	v_add_f32_e32 v62, v62, v92
	v_mul_f32_e32 v92, 0x3ee437d1, v39
	v_add_f32_e32 v58, v58, v1
	v_mul_f32_e32 v70, 0x3f06c442, v70
	v_add_f32_e32 v90, v91, v90
	v_fma_f32 v91, 0xbf1a4643, v37, -v69
	v_add_f32_e32 v64, v64, v92
	v_add_f32_e32 v58, v62, v58
	v_mul_f32_e32 v62, 0xbe3c28d5, v75
	v_mul_f32_e32 v75, 0x3dbcf732, v41
	v_add_f32_e32 v90, v91, v90
	v_mul_f32_e32 v91, 0x3f6eb680, v34
	v_add_f32_e32 v58, v64, v58
	v_fma_f32 v92, 0xbf7ba420, v40, -v62
	v_add_f32_e32 v64, v65, v75
	v_mul_f32_e32 v65, 0x3f3d2fb0, v35
	v_sub_f32_e32 v50, v91, v50
	v_add_f32_e32 v13, v13, v26
	v_add_f32_e32 v75, v92, v90
	v_mul_f32_e32 v90, 0xbe8c1d8e, v43
	v_sub_f32_e32 v51, v65, v51
	v_add_f32_e32 v50, v50, v0
	v_mul_f32_e32 v65, 0x3ee437d1, v37
	v_add_f32_e32 v12, v12, v27
	v_fma_f32 v26, 0x3f3d2fb0, v38, -v77
	v_fmac_f32_e32 v61, 0x3f3d2fb0, v34
	v_add_f32_e32 v58, v64, v58
	v_fma_f32 v64, 0xbf59a7d5, v42, -v70
	v_add_f32_e32 v72, v72, v90
	v_add_f32_e32 v50, v51, v50
	v_sub_f32_e32 v51, v65, v54
	v_mul_f32_e32 v54, 0x3dbcf732, v40
	v_mul_f32_e32 v71, 0x3f763a35, v71
	v_add_f32_e32 v13, v15, v13
	v_add_f32_e32 v12, v14, v12
	;; [unrolled: 1-line block ×3, first 2 shown]
	v_fma_f32 v14, 0x3dbcf732, v36, -v78
	v_add_f32_e32 v0, v61, v0
	v_fmac_f32_e32 v63, 0x3dbcf732, v35
	v_add_f32_e32 v165, v175, v165
	v_add_f32_e32 v64, v64, v75
	v_mul_f32_e32 v65, 0xbf1a4643, v45
	v_add_f32_e32 v50, v51, v50
	v_sub_f32_e32 v51, v54, v55
	v_add_f32_e32 v54, v72, v58
	v_mul_f32_e32 v55, 0xbe8c1d8e, v42
	v_fma_f32 v58, 0xbe8c1d8e, v44, -v71
	v_add_f32_e32 v9, v9, v13
	v_add_f32_e32 v8, v8, v12
	;; [unrolled: 1-line block ×3, first 2 shown]
	v_fma_f32 v12, 0xbf1a4643, v39, -v79
	v_add_f32_e32 v0, v63, v0
	v_fmac_f32_e32 v69, 0xbf1a4643, v37
	v_add_f32_e32 v165, v180, v165
	v_fmac_f32_e32 v182, 0xbf763a35, v84
	v_add_f32_e32 v114, v153, v114
	v_fma_f32 v153, 0xbf1a4643, v40, -v158
	v_add_f32_e32 v65, v66, v65
	v_add_f32_e32 v50, v51, v50
	v_mul_f32_e32 v51, 0xbf59a7d5, v47
	v_sub_f32_e32 v55, v55, v56
	v_add_f32_e32 v56, v58, v64
	v_mul_f32_e32 v58, 0xbf1a4643, v44
	v_add_f32_e32 v9, v11, v9
	v_add_f32_e32 v8, v10, v8
	;; [unrolled: 1-line block ×3, first 2 shown]
	v_fma_f32 v10, 0xbf7ba420, v41, -v81
	v_add_f32_e32 v0, v69, v0
	v_fmac_f32_e32 v62, 0xbf7ba420, v40
	v_add_f32_e32 v155, v182, v165
	v_fmac_f32_e32 v169, 0x3f7ee86f, v76
	v_add_f32_e32 v153, v153, v114
	v_fma_f32 v158, 0x3f6eb680, v42, -v160
	v_add_f32_e32 v54, v65, v54
	v_add_f32_e32 v51, v74, v51
	;; [unrolled: 1-line block ×3, first 2 shown]
	v_mul_f32_e32 v55, 0xbf59a7d5, v46
	v_sub_f32_e32 v57, v58, v57
	v_add_f32_e32 v5, v5, v9
	v_add_f32_e32 v4, v4, v8
	;; [unrolled: 1-line block ×3, first 2 shown]
	v_fma_f32 v8, 0xbf59a7d5, v43, -v82
	v_add_f32_e32 v0, v62, v0
	v_fmac_f32_e32 v70, 0xbf59a7d5, v42
	v_mul_f32_e32 v84, 0x3f65296c, v84
	v_mul_f32_e32 v59, 0x3f65296c, v59
	v_add_f32_e32 v114, v169, v155
	v_add_f32_e32 v153, v158, v153
	v_fma_f32 v155, 0xbf7ba420, v44, -v162
	v_mul_f32_e32 v58, 0xbf7ba420, v48
	v_add_f32_e32 v51, v51, v54
	v_mul_f32_e32 v54, 0xbf7ba420, v49
	v_add_f32_e32 v57, v57, v50
	v_sub_f32_e32 v55, v55, v60
	v_add_f32_e32 v5, v7, v5
	v_add_f32_e32 v4, v6, v4
	;; [unrolled: 1-line block ×3, first 2 shown]
	v_fma_f32 v7, 0xbe8c1d8e, v45, -v83
	v_add_f32_e32 v8, v70, v0
	v_fmac_f32_e32 v71, 0xbe8c1d8e, v44
	v_fmamk_f32 v93, v47, 0x3ee437d1, v84
	v_mul_f32_e32 v64, 0x3eb8f4ab, v76
	v_fma_f32 v60, 0x3ee437d1, v46, -v59
	v_mul_f32_e32 v65, 0x3eb8f4ab, v68
	v_add_f32_e32 v153, v155, v153
	v_fma_f32 v155, 0x3f3d2fb0, v46, -v164
	v_add_f32_e32 v54, v73, v54
	v_add_f32_e32 v57, v55, v57
	v_sub_f32_e32 v58, v58, v67
	v_add_f32_e32 v1, v33, v5
	v_add_f32_e32 v0, v32, v4
	;; [unrolled: 1-line block ×3, first 2 shown]
	v_fma_f32 v5, 0x3ee437d1, v47, -v84
	v_add_f32_e32 v6, v71, v8
	v_fmac_f32_e32 v59, 0x3ee437d1, v46
	v_mul_lo_u16 v7, v128, 17
	v_mov_b32_e32 v8, 3
	v_add_f32_e32 v89, v93, v89
	v_fmamk_f32 v50, v49, 0x3f6eb680, v64
	v_add_f32_e32 v56, v60, v56
	v_fma_f32 v60, 0x3f6eb680, v48, -v65
	v_fmac_f32_e32 v29, 0x3f2c7751, v76
	v_fma_f32 v28, 0x3f3d2fb0, v48, -v28
	v_add_f32_e32 v153, v155, v153
	v_fma_f32 v141, 0xbe8c1d8e, v48, -v177
	v_add_f32_e32 v55, v54, v51
	v_add_f32_e32 v54, v58, v57
	;; [unrolled: 1-line block ×3, first 2 shown]
	v_fma_f32 v5, 0x3f6eb680, v49, -v64
	v_add_f32_e32 v6, v59, v6
	v_fmac_f32_e32 v65, 0x3f6eb680, v48
	v_lshlrev_b32_sdwa v7, v8, v7 dst_sel:DWORD dst_unused:UNUSED_PAD src0_sel:DWORD src1_sel:WORD_0
	v_add_f32_e32 v50, v50, v89
	v_add_f32_e32 v49, v60, v56
	;; [unrolled: 1-line block ×7, first 2 shown]
	ds_write2_b64 v7, v[0:1], v[54:55] offset1:1
	ds_write2_b64 v7, v[49:50], v[30:31] offset0:2 offset1:3
	ds_write2_b64 v7, v[28:29], v[85:86] offset0:4 offset1:5
	;; [unrolled: 1-line block ×7, first 2 shown]
	ds_write_b64 v7, v[52:53] offset:128
.LBB0_7:
	s_or_b32 exec_lo, exec_lo, s4
	v_and_b32_e32 v0, 0xff, v128
	v_add_co_u32 v44, null, 0x264, v128
	v_mov_b32_e32 v8, 0xf0f1
	v_add_nc_u16 v4, v128, 0x66
	v_mul_lo_u16 v15, 0xf1, v0
	v_add_co_u32 v0, null, 0x198, v128
	v_add_co_u32 v45, null, 0x2ca, v128
	v_lshrrev_b16 v43, 12, v15
	v_mul_u32_u24_sdwa v6, v0, v8 dst_sel:DWORD dst_unused:UNUSED_PAD src0_sel:WORD_0 src1_sel:DWORD
	v_mul_u32_u24_sdwa v16, v44, v8 dst_sel:DWORD dst_unused:UNUSED_PAD src0_sel:WORD_0 src1_sel:DWORD
	v_and_b32_e32 v7, 0xff, v4
	v_mul_u32_u24_sdwa v17, v45, v8 dst_sel:DWORD dst_unused:UNUSED_PAD src0_sel:WORD_0 src1_sel:DWORD
	v_mul_lo_u16 v3, v43, 17
	v_lshrrev_b32_e32 v49, 20, v6
	v_lshrrev_b32_e32 v51, 20, v16
	v_mul_lo_u16 v46, 0xf1, v7
	v_add_co_u32 v1, null, 0xcc, v128
	v_sub_nc_u16 v5, v128, v3
	v_add_nc_u16 v3, v128, 0x1fe
	v_mul_lo_u16 v12, v49, 17
	v_lshrrev_b32_e32 v54, 20, v17
	v_mul_lo_u16 v14, v51, 17
	v_and_b32_e32 v47, 0xff, v5
	v_mul_u32_u24_sdwa v5, v3, v8 dst_sel:DWORD dst_unused:UNUSED_PAD src0_sel:WORD_0 src1_sel:DWORD
	v_add_co_u32 v2, null, 0x132, v128
	v_lshrrev_b16 v48, 12, v46
	v_mov_b32_e32 v60, 3
	v_lshrrev_b32_e32 v50, 20, v5
	v_mul_u32_u24_sdwa v9, v1, v8 dst_sel:DWORD dst_unused:UNUSED_PAD src0_sel:WORD_0 src1_sel:DWORD
	v_sub_nc_u16 v55, v0, v12
	v_mul_lo_u16 v12, v54, 17
	v_sub_nc_u16 v58, v44, v14
	v_mul_lo_u16 v13, v50, 17
	v_mul_u32_u24_sdwa v8, v2, v8 dst_sel:DWORD dst_unused:UNUSED_PAD src0_sel:WORD_0 src1_sel:DWORD
	v_mul_lo_u16 v11, v48, 17
	v_lshlrev_b32_e32 v10, 3, v47
	v_lshrrev_b32_e32 v57, 20, v9
	v_sub_nc_u16 v56, v3, v13
	v_lshlrev_b32_sdwa v13, v60, v55 dst_sel:DWORD dst_unused:UNUSED_PAD src0_sel:DWORD src1_sel:WORD_0
	v_sub_nc_u16 v59, v45, v12
	v_lshlrev_b32_sdwa v14, v60, v58 dst_sel:DWORD dst_unused:UNUSED_PAD src0_sel:DWORD src1_sel:WORD_0
	v_lshrrev_b32_e32 v61, 20, v8
	v_lshlrev_b32_sdwa v12, v60, v56 dst_sel:DWORD dst_unused:UNUSED_PAD src0_sel:DWORD src1_sel:WORD_0
	v_sub_nc_u16 v11, v4, v11
	s_load_dwordx4 s[4:7], s[0:1], 0x0
	s_waitcnt lgkmcnt(0)
	s_barrier
	buffer_gl0_inv
	s_clause 0x3
	global_load_dwordx2 v[87:88], v13, s[2:3]
	global_load_dwordx2 v[81:82], v14, s[2:3]
	;; [unrolled: 1-line block ×4, first 2 shown]
	v_mul_lo_u16 v12, v57, 17
	v_mul_lo_u16 v10, v61, 17
	v_lshlrev_b32_sdwa v13, v60, v59 dst_sel:DWORD dst_unused:UNUSED_PAD src0_sel:DWORD src1_sel:WORD_0
	v_and_b32_e32 v62, 0xff, v11
	v_lshlrev_b32_sdwa v129, v60, v128 dst_sel:DWORD dst_unused:UNUSED_PAD src0_sel:DWORD src1_sel:WORD_0
	v_sub_nc_u16 v63, v1, v12
	v_sub_nc_u16 v64, v2, v10
	global_load_dwordx2 v[83:84], v13, s[2:3]
	v_lshlrev_b32_e32 v10, 3, v62
	v_add_nc_u32_e32 v66, 0x400, v129
	v_lshlrev_b32_sdwa v11, v60, v63 dst_sel:DWORD dst_unused:UNUSED_PAD src0_sel:DWORD src1_sel:WORD_0
	v_lshlrev_b32_sdwa v12, v60, v64 dst_sel:DWORD dst_unused:UNUSED_PAD src0_sel:DWORD src1_sel:WORD_0
	s_clause 0x2
	global_load_dwordx2 v[95:96], v10, s[2:3]
	global_load_dwordx2 v[93:94], v11, s[2:3]
	;; [unrolled: 1-line block ×3, first 2 shown]
	v_add_nc_u32_e32 v10, 0x1800, v129
	v_add_nc_u32_e32 v67, 0x1c00, v129
	;; [unrolled: 1-line block ×4, first 2 shown]
	ds_read2_b64 v[11:14], v129 offset1:102
	v_add_nc_u32_e32 v70, 0x1000, v129
	v_add_nc_u32_e32 v71, 0x2800, v129
	v_lshrrev_b16 v72, 13, v15
	v_lshrrev_b32_e32 v77, 21, v16
	v_lshrrev_b32_e32 v78, 21, v17
	ds_read2_b64 v[15:18], v10 offset0:48 offset1:150
	ds_read2_b64 v[19:22], v66 offset0:76 offset1:178
	;; [unrolled: 1-line block ×7, first 2 shown]
	v_mov_b32_e32 v65, 34
	v_mul_lo_u16 v79, v72, 34
	v_lshrrev_b16 v46, 13, v46
	v_mul_lo_u16 v43, v43, 34
	v_mul_lo_u16 v101, v77, 34
	v_mul_u32_u24_sdwa v48, v48, v65 dst_sel:DWORD dst_unused:UNUSED_PAD src0_sel:WORD_0 src1_sel:DWORD
	v_sub_nc_u16 v65, v128, v79
	v_mul_lo_u16 v79, v46, 34
	v_and_b32_e32 v43, 0xfe, v43
	v_sub_nc_u16 v117, v44, v101
	v_mad_u16 v44, v57, 34, v63
	v_mad_u16 v50, v50, 34, v56
	;; [unrolled: 1-line block ×3, first 2 shown]
	v_sub_nc_u16 v56, v4, v79
	v_mad_u16 v57, v61, 34, v64
	v_mad_u16 v51, v51, 34, v58
	v_add_lshl_u32 v141, v43, v47, 3
	v_lshlrev_b32_sdwa v140, v60, v44 dst_sel:DWORD dst_unused:UNUSED_PAD src0_sel:DWORD src1_sel:WORD_0
	v_lshlrev_b32_sdwa v137, v60, v50 dst_sel:DWORD dst_unused:UNUSED_PAD src0_sel:DWORD src1_sel:WORD_0
	v_and_b32_e32 v47, 0xff, v56
	v_lshlrev_b32_sdwa v135, v60, v54 dst_sel:DWORD dst_unused:UNUSED_PAD src0_sel:DWORD src1_sel:WORD_0
	v_lshlrev_b32_sdwa v139, v60, v57 dst_sel:DWORD dst_unused:UNUSED_PAD src0_sel:DWORD src1_sel:WORD_0
	v_add_lshl_u32 v142, v48, v62, 3
	v_lshlrev_b32_sdwa v136, v60, v51 dst_sel:DWORD dst_unused:UNUSED_PAD src0_sel:DWORD src1_sel:WORD_0
	v_lshrrev_b32_e32 v74, 21, v8
	v_lshrrev_b32_e32 v75, 21, v6
	;; [unrolled: 1-line block ×4, first 2 shown]
	v_mad_u16 v49, v49, 34, v55
	v_mul_lo_u16 v98, v74, 34
	v_mul_lo_u16 v99, v75, 34
	v_mul_lo_u16 v97, v73, 34
	v_mul_lo_u16 v100, v76, 34
	v_and_b32_e32 v55, 0xff, v65
	v_sub_nc_u16 v114, v2, v98
	v_sub_nc_u16 v115, v0, v99
	v_mul_lo_u16 v102, v78, 34
	v_sub_nc_u16 v113, v1, v97
	v_sub_nc_u16 v116, v3, v100
	v_lshlrev_b32_sdwa v138, v60, v49 dst_sel:DWORD dst_unused:UNUSED_PAD src0_sel:DWORD src1_sel:WORD_0
	v_lshlrev_b32_e32 v49, 3, v55
	v_lshlrev_b32_e32 v48, 3, v47
	s_waitcnt vmcnt(0) lgkmcnt(0)
	s_barrier
	buffer_gl0_inv
	v_sub_nc_u16 v45, v45, v102
	v_lshlrev_b32_sdwa v58, v60, v113 dst_sel:DWORD dst_unused:UNUSED_PAD src0_sel:DWORD src1_sel:WORD_0
	v_cmp_gt_u16_e64 s0, 34, v128
	v_mul_f32_e32 v43, v32, v88
	v_mul_f32_e32 v44, v31, v88
	;; [unrolled: 1-line block ×8, first 2 shown]
	v_fma_f32 v31, v31, v87, -v43
	v_fmac_f32_e32 v44, v32, v87
	v_fma_f32 v32, v33, v85, -v50
	v_mul_f32_e32 v59, v41, v84
	v_mul_f32_e32 v57, v42, v84
	v_fma_f32 v33, v39, v81, -v54
	v_fmac_f32_e32 v56, v40, v81
	v_fmac_f32_e32 v62, v16, v91
	;; [unrolled: 1-line block ×3, first 2 shown]
	v_mul_f32_e32 v42, v18, v96
	v_mul_f32_e32 v43, v17, v96
	;; [unrolled: 1-line block ×4, first 2 shown]
	v_fma_f32 v39, v41, v83, -v57
	v_fma_f32 v41, v15, v91, -v61
	v_mul_f32_e32 v57, v26, v90
	v_mul_f32_e32 v61, v25, v90
	v_fmac_f32_e32 v51, v34, v85
	v_sub_f32_e32 v15, v27, v31
	v_sub_f32_e32 v16, v28, v44
	;; [unrolled: 1-line block ×4, first 2 shown]
	v_fma_f32 v42, v17, v95, -v42
	v_fmac_f32_e32 v43, v18, v95
	v_fma_f32 v44, v23, v93, -v50
	v_fmac_f32_e32 v54, v24, v93
	;; [unrolled: 2-line block ×3, first 2 shown]
	v_sub_f32_e32 v17, v11, v41
	v_sub_f32_e32 v18, v12, v62
	v_fma_f32 v23, v27, 2.0, -v15
	v_fma_f32 v24, v28, 2.0, -v16
	;; [unrolled: 1-line block ×4, first 2 shown]
	v_sub_f32_e32 v35, v13, v42
	v_sub_f32_e32 v36, v14, v43
	;; [unrolled: 1-line block ×10, first 2 shown]
	v_fma_f32 v11, v11, 2.0, -v17
	v_fma_f32 v12, v12, 2.0, -v18
	;; [unrolled: 1-line block ×12, first 2 shown]
	ds_write2_b64 v141, v[11:12], v[17:18] offset1:17
	ds_write2_b64 v142, v[13:14], v[35:36] offset1:17
	;; [unrolled: 1-line block ×8, first 2 shown]
	v_lshlrev_b32_sdwa v11, v60, v114 dst_sel:DWORD dst_unused:UNUSED_PAD src0_sel:DWORD src1_sel:WORD_0
	v_lshlrev_b32_sdwa v12, v60, v115 dst_sel:DWORD dst_unused:UNUSED_PAD src0_sel:DWORD src1_sel:WORD_0
	;; [unrolled: 1-line block ×3, first 2 shown]
	s_waitcnt lgkmcnt(0)
	s_barrier
	buffer_gl0_inv
	s_clause 0x3
	global_load_dwordx2 v[111:112], v49, s[2:3] offset:136
	global_load_dwordx2 v[107:108], v48, s[2:3] offset:136
	;; [unrolled: 1-line block ×4, first 2 shown]
	v_lshlrev_b32_sdwa v11, v60, v117 dst_sel:DWORD dst_unused:UNUSED_PAD src0_sel:DWORD src1_sel:WORD_0
	v_lshlrev_b32_sdwa v12, v60, v45 dst_sel:DWORD dst_unused:UNUSED_PAD src0_sel:DWORD src1_sel:WORD_0
	s_clause 0x3
	global_load_dwordx2 v[109:110], v58, s[2:3] offset:136
	global_load_dwordx2 v[101:102], v13, s[2:3] offset:136
	;; [unrolled: 1-line block ×4, first 2 shown]
	v_mul_lo_u16 v11, 0x44, v72
	v_mov_b32_e32 v12, 0x44
	v_mad_u16 v16, 0x44, v73, v113
	v_mad_u16 v19, 0x44, v74, v114
	;; [unrolled: 1-line block ×3, first 2 shown]
	v_and_b32_e32 v15, 0xfc, v11
	v_mad_u16 v21, 0x44, v76, v116
	v_mul_u32_u24_sdwa v23, v46, v12 dst_sel:DWORD dst_unused:UNUSED_PAD src0_sel:WORD_0 src1_sel:DWORD
	ds_read2_b64 v[11:14], v10 offset0:48 offset1:150
	v_lshlrev_b32_sdwa v148, v60, v16 dst_sel:DWORD dst_unused:UNUSED_PAD src0_sel:DWORD src1_sel:WORD_0
	v_add_lshl_u32 v149, v15, v55, 3
	ds_read2_b64 v[15:18], v67 offset0:124 offset1:226
	v_mad_u16 v24, 0x44, v77, v117
	v_mad_u16 v25, 0x44, v78, v45
	v_lshlrev_b32_sdwa v147, v60, v19 dst_sel:DWORD dst_unused:UNUSED_PAD src0_sel:DWORD src1_sel:WORD_0
	v_lshlrev_b32_sdwa v146, v60, v20 dst_sel:DWORD dst_unused:UNUSED_PAD src0_sel:DWORD src1_sel:WORD_0
	;; [unrolled: 1-line block ×3, first 2 shown]
	ds_read2_b64 v[19:22], v69 offset0:72 offset1:174
	v_lshlrev_b32_sdwa v144, v60, v24 dst_sel:DWORD dst_unused:UNUSED_PAD src0_sel:DWORD src1_sel:WORD_0
	v_lshlrev_b32_sdwa v143, v60, v25 dst_sel:DWORD dst_unused:UNUSED_PAD src0_sel:DWORD src1_sel:WORD_0
	v_add_lshl_u32 v150, v23, v47, 3
	ds_read2_b64 v[23:26], v71 offset0:148 offset1:250
	ds_read2_b64 v[27:30], v129 offset1:102
	ds_read2_b64 v[31:34], v66 offset0:76 offset1:178
	ds_read2_b64 v[35:38], v68 offset0:152 offset1:254
	;; [unrolled: 1-line block ×3, first 2 shown]
	v_add_nc_u32_e32 v43, 0xc00, v129
	v_add_nc_u32_e32 v44, 0x2000, v129
	s_waitcnt vmcnt(0) lgkmcnt(0)
	s_barrier
	buffer_gl0_inv
	v_mul_f32_e32 v45, v12, v112
	v_mul_f32_e32 v46, v11, v112
	;; [unrolled: 1-line block ×16, first 2 shown]
	v_fma_f32 v11, v11, v111, -v45
	v_fmac_f32_e32 v46, v12, v111
	v_fma_f32 v13, v13, v107, -v47
	v_fmac_f32_e32 v48, v14, v107
	;; [unrolled: 2-line block ×8, first 2 shown]
	v_sub_f32_e32 v11, v27, v11
	v_sub_f32_e32 v12, v28, v46
	;; [unrolled: 1-line block ×16, first 2 shown]
	v_fma_f32 v25, v27, 2.0, -v11
	v_fma_f32 v26, v28, 2.0, -v12
	;; [unrolled: 1-line block ×16, first 2 shown]
	ds_write2_b64 v149, v[25:26], v[11:12] offset1:34
	ds_write2_b64 v150, v[27:28], v[13:14] offset1:34
	;; [unrolled: 1-line block ×8, first 2 shown]
	s_waitcnt lgkmcnt(0)
	s_barrier
	buffer_gl0_inv
	ds_read2_b64 v[28:31], v129 offset1:102
	ds_read2_b64 v[24:27], v43 offset0:24 offset1:160
	ds_read2_b64 v[36:39], v44 offset0:64 offset1:166
	;; [unrolled: 1-line block ×6, first 2 shown]
	ds_read_b64 v[56:57], v129 offset:11968
                                        ; implicit-def: $vgpr58
	s_and_saveexec_b32 s1, s0
	s_cbranch_execz .LBB0_9
; %bb.8:
	ds_read_b64 v[54:55], v129 offset:4080
	ds_read_b64 v[52:53], v129 offset:8432
	;; [unrolled: 1-line block ×3, first 2 shown]
.LBB0_9:
	s_or_b32 exec_lo, exec_lo, s1
	v_mul_lo_u16 v7, 0x79, v7
	v_add_co_u32 v10, s1, 0xffffffbc, v128
	v_add_co_ci_u32_e64 v11, null, 0, -1, s1
	v_cmp_gt_u16_e64 s1, 0x44, v128
	v_lshrrev_b16 v65, 13, v7
	v_lshrrev_b32_e32 v63, 22, v9
	v_lshrrev_b32_e32 v64, 22, v8
	v_lshrrev_b32_e32 v67, 22, v6
	v_cndmask_b32_e64 v62, v11, 0, s1
	v_mul_lo_u16 v11, 0x44, v65
	v_cndmask_b32_e64 v61, v10, v128, s1
	v_mul_lo_u16 v9, 0x44, v63
	v_mul_lo_u16 v10, 0x44, v64
	v_lshrrev_b32_e32 v5, 22, v5
	v_sub_nc_u16 v4, v4, v11
	v_lshlrev_b64 v[7:8], 4, v[61:62]
	v_sub_nc_u16 v62, v1, v9
	v_sub_nc_u16 v66, v2, v10
	v_mov_b32_e32 v70, 0xcc
	v_and_b32_e32 v68, 0xff, v4
	v_mul_lo_u16 v4, 0x44, v67
	v_lshlrev_b16 v1, 4, v62
	v_lshlrev_b16 v2, 4, v66
	v_add_co_u32 v7, s1, s2, v7
	v_sub_nc_u16 v69, v0, v4
	v_mul_lo_u16 v4, 0x44, v5
	v_and_b32_e32 v1, 0xffff, v1
	v_and_b32_e32 v2, 0xffff, v2
	v_add_co_ci_u32_e64 v8, s1, s3, v8, s1
	v_sub_nc_u16 v130, v3, v4
	v_add_co_u32 v0, s1, s2, v1
	v_lshlrev_b16 v5, 4, v69
	v_add_co_ci_u32_e64 v1, null, s3, 0, s1
	v_add_co_u32 v2, s1, s2, v2
	v_lshlrev_b32_e32 v6, 4, v68
	v_lshlrev_b16 v4, 4, v130
	v_add_co_ci_u32_e64 v3, null, s3, 0, s1
	v_and_b32_e32 v5, 0xffff, v5
	s_clause 0x3
	global_load_dwordx4 v[12:15], v[7:8], off offset:408
	global_load_dwordx4 v[20:23], v6, s[2:3] offset:408
	global_load_dwordx4 v[16:19], v[0:1], off offset:408
	global_load_dwordx4 v[8:11], v[2:3], off offset:408
	v_and_b32_e32 v2, 0xffff, v4
	v_add_co_u32 v0, s1, s2, v5
	v_add_co_ci_u32_e64 v1, null, s3, 0, s1
	v_add_co_u32 v2, s1, s2, v2
	v_add_co_ci_u32_e64 v3, null, s3, 0, s1
	s_clause 0x1
	global_load_dwordx4 v[4:7], v[0:1], off offset:408
	global_load_dwordx4 v[0:3], v[2:3], off offset:408
	v_cmp_lt_u16_e64 s1, 0x43, v128
	v_mad_u16 v62, 0xcc, v63, v62
	v_mad_u16 v63, 0xcc, v64, v66
	;; [unrolled: 1-line block ×3, first 2 shown]
	v_mul_u32_u24_sdwa v65, v65, v70 dst_sel:DWORD dst_unused:UNUSED_PAD src0_sel:WORD_0 src1_sel:DWORD
	v_cndmask_b32_e64 v71, 0, 0xcc, s1
	v_lshlrev_b32_sdwa v244, v60, v62 dst_sel:DWORD dst_unused:UNUSED_PAD src0_sel:DWORD src1_sel:WORD_0
	v_lshlrev_b32_sdwa v243, v60, v63 dst_sel:DWORD dst_unused:UNUSED_PAD src0_sel:DWORD src1_sel:WORD_0
	;; [unrolled: 1-line block ×3, first 2 shown]
	v_add_lshl_u32 v245, v65, v68, 3
	v_add_lshl_u32 v246, v61, v71, 3
	s_waitcnt vmcnt(0) lgkmcnt(0)
	s_barrier
	buffer_gl0_inv
	v_mul_f32_e32 v60, v27, v13
	v_mul_f32_e32 v61, v26, v13
	;; [unrolled: 1-line block ×5, first 2 shown]
	v_fma_f32 v60, v26, v12, -v60
	v_fmac_f32_e32 v61, v27, v12
	v_fma_f32 v62, v36, v14, -v62
	v_fmac_f32_e32 v63, v37, v14
	v_mul_f32_e32 v36, v41, v21
	v_mul_f32_e32 v37, v39, v23
	;; [unrolled: 1-line block ×19, first 2 shown]
	v_add_f32_e32 v113, v28, v60
	v_add_f32_e32 v114, v60, v62
	v_sub_f32_e32 v115, v61, v63
	v_add_f32_e32 v116, v29, v61
	v_add_f32_e32 v61, v61, v63
	v_fma_f32 v40, v40, v20, -v36
	v_fmac_f32_e32 v64, v41, v20
	v_fma_f32 v117, v38, v22, -v37
	v_fmac_f32_e32 v65, v39, v22
	;; [unrolled: 2-line block ×8, first 2 shown]
	v_sub_f32_e32 v60, v60, v62
	v_fma_f32 v43, v50, v4, -v74
	v_fmac_f32_e32 v75, v51, v4
	v_fma_f32 v48, v56, v6, -v76
	v_fmac_f32_e32 v77, v57, v6
	v_add_f32_e32 v38, v113, v62
	v_fma_f32 v28, -0.5, v114, v28
	v_fma_f32 v29, -0.5, v61, v29
	v_add_f32_e32 v45, v30, v40
	v_add_f32_e32 v47, v40, v117
	;; [unrolled: 1-line block ×8, first 2 shown]
	v_sub_f32_e32 v57, v67, v69
	v_add_f32_e32 v58, v33, v67
	v_add_f32_e32 v63, v42, v46
	;; [unrolled: 1-line block ×3, first 2 shown]
	v_sub_f32_e32 v50, v64, v65
	v_add_f32_e32 v49, v31, v64
	v_sub_f32_e32 v52, v40, v117
	v_add_f32_e32 v53, v32, v41
	;; [unrolled: 2-line block ×6, first 2 shown]
	v_add_f32_e32 v75, v75, v77
	v_sub_f32_e32 v79, v27, v26
	v_sub_f32_e32 v114, v37, v36
	v_fmamk_f32 v40, v115, 0x3f5db3d7, v28
	v_fmamk_f32 v41, v60, 0xbf5db3d7, v29
	v_add_f32_e32 v42, v45, v117
	v_fma_f32 v30, -0.5, v47, v30
	v_fmac_f32_e32 v31, -0.5, v51
	v_fma_f32 v117, -0.5, v78, v54
	v_fma_f32 v118, -0.5, v113, v55
	v_fmac_f32_e32 v28, 0xbf5db3d7, v115
	v_fmac_f32_e32 v29, 0x3f5db3d7, v60
	v_fma_f32 v32, -0.5, v56, v32
	v_fma_f32 v33, -0.5, v59, v33
	;; [unrolled: 1-line block ×3, first 2 shown]
	v_fmac_f32_e32 v35, -0.5, v67
	v_add_f32_e32 v70, v24, v43
	v_sub_f32_e32 v76, v43, v48
	v_add_f32_e32 v43, v49, v65
	v_fma_f32 v24, -0.5, v71, v24
	v_fmac_f32_e32 v25, -0.5, v75
	ds_write2_b64 v246, v[38:39], v[40:41] offset1:68
	ds_write_b64 v246, v[28:29] offset:1088
	v_fmamk_f32 v28, v50, 0x3f5db3d7, v30
	v_fmamk_f32 v29, v52, 0xbf5db3d7, v31
	v_fmamk_f32 v119, v79, 0x3f5db3d7, v117
	v_fmac_f32_e32 v117, 0xbf5db3d7, v79
	v_fmamk_f32 v120, v114, 0xbf5db3d7, v118
	v_fmac_f32_e32 v118, 0x3f5db3d7, v114
	v_fmac_f32_e32 v30, 0xbf5db3d7, v50
	;; [unrolled: 1-line block ×3, first 2 shown]
	v_add_f32_e32 v44, v53, v44
	v_add_f32_e32 v45, v58, v69
	v_fmamk_f32 v38, v57, 0x3f5db3d7, v32
	v_fmamk_f32 v39, v61, 0xbf5db3d7, v33
	v_fmac_f32_e32 v32, 0xbf5db3d7, v57
	v_fmac_f32_e32 v33, 0x3f5db3d7, v61
	v_add_f32_e32 v46, v62, v46
	v_add_f32_e32 v47, v66, v73
	v_fmamk_f32 v40, v64, 0x3f5db3d7, v34
	v_fmamk_f32 v41, v68, 0xbf5db3d7, v35
	v_add_f32_e32 v48, v70, v48
	v_add_f32_e32 v49, v74, v77
	v_fmac_f32_e32 v34, 0xbf5db3d7, v64
	v_fmac_f32_e32 v35, 0x3f5db3d7, v68
	v_fmamk_f32 v50, v72, 0x3f5db3d7, v24
	v_fmac_f32_e32 v24, 0xbf5db3d7, v72
	v_fmamk_f32 v51, v76, 0xbf5db3d7, v25
	v_fmac_f32_e32 v25, 0x3f5db3d7, v76
	ds_write2_b64 v245, v[42:43], v[28:29] offset1:68
	ds_write_b64 v245, v[30:31] offset:1088
	ds_write2_b64 v244, v[44:45], v[38:39] offset1:68
	ds_write_b64 v244, v[32:33] offset:1088
	;; [unrolled: 2-line block ×4, first 2 shown]
	s_and_saveexec_b32 s1, s0
	s_cbranch_execz .LBB0_11
; %bb.10:
	v_mov_b32_e32 v24, 3
	v_add_f32_e32 v25, v55, v27
	v_add_f32_e32 v27, v54, v37
	v_lshlrev_b32_sdwa v28, v24, v130 dst_sel:DWORD dst_unused:UNUSED_PAD src0_sel:DWORD src1_sel:WORD_0
	v_add_f32_e32 v25, v25, v26
	v_add_f32_e32 v24, v27, v36
	v_add_nc_u32_e32 v26, 0x2800, v28
	ds_write2_b64 v26, v[24:25], v[119:120] offset0:148 offset1:216
	ds_write_b64 v28, v[117:118] offset:12512
.LBB0_11:
	s_or_b32 exec_lo, exec_lo, s1
	v_mad_u64_u32 v[24:25], null, v128, 56, s[2:3]
	s_waitcnt lgkmcnt(0)
	s_barrier
	buffer_gl0_inv
	v_add_nc_u32_e32 v121, 0x400, v129
	v_add_nc_u32_e32 v122, 0x800, v129
	;; [unrolled: 1-line block ×3, first 2 shown]
	v_add_co_u32 v26, s1, 0x1800, v24
	v_add_co_ci_u32_e64 v27, s1, 0, v25, s1
	v_add_co_u32 v48, s1, 0x1c28, v24
	s_clause 0x3
	global_load_dwordx4 v[40:43], v[24:25], off offset:1496
	global_load_dwordx4 v[32:35], v[24:25], off offset:1512
	;; [unrolled: 1-line block ×3, first 2 shown]
	global_load_dwordx2 v[115:116], v[24:25], off offset:1544
	v_add_co_ci_u32_e64 v49, s1, 0, v25, s1
	s_clause 0x3
	global_load_dwordx4 v[44:47], v[26:27], off offset:1064
	global_load_dwordx4 v[36:39], v[48:49], off offset:16
	;; [unrolled: 1-line block ×3, first 2 shown]
	global_load_dwordx2 v[113:114], v[48:49], off offset:48
	v_add_nc_u32_e32 v153, 0x1800, v129
	v_add_nc_u32_e32 v154, 0x1c00, v129
	;; [unrolled: 1-line block ×4, first 2 shown]
	ds_read2_b64 v[48:51], v121 offset0:76 offset1:178
	ds_read2_b64 v[52:55], v122 offset0:152 offset1:254
	;; [unrolled: 1-line block ×7, first 2 shown]
	ds_read2_b64 v[76:79], v129 offset1:102
	s_waitcnt vmcnt(7) lgkmcnt(7)
	v_mul_f32_e32 v157, v49, v41
	v_mul_f32_e32 v158, v48, v41
	s_waitcnt lgkmcnt(6)
	v_mul_f32_e32 v159, v53, v43
	v_mul_f32_e32 v160, v52, v43
	s_waitcnt vmcnt(6) lgkmcnt(5)
	v_mul_f32_e32 v161, v57, v33
	v_mul_f32_e32 v162, v56, v33
	s_waitcnt lgkmcnt(4)
	v_mul_f32_e32 v163, v61, v35
	v_mul_f32_e32 v164, v60, v35
	;; [unrolled: 6-line block ×3, first 2 shown]
	s_waitcnt vmcnt(4) lgkmcnt(1)
	v_mul_f32_e32 v169, v73, v116
	v_mul_f32_e32 v170, v72, v116
	v_fma_f32 v48, v48, v40, -v157
	v_fmac_f32_e32 v158, v49, v40
	v_fma_f32 v49, v52, v42, -v159
	v_fmac_f32_e32 v160, v53, v42
	;; [unrolled: 2-line block ×7, first 2 shown]
	s_waitcnt vmcnt(3)
	v_mul_f32_e32 v61, v51, v45
	v_mul_f32_e32 v64, v50, v45
	v_mul_f32_e32 v65, v55, v47
	v_mul_f32_e32 v68, v54, v47
	s_waitcnt vmcnt(2)
	v_mul_f32_e32 v69, v59, v37
	v_mul_f32_e32 v72, v58, v37
	v_mul_f32_e32 v73, v63, v39
	v_mul_f32_e32 v157, v62, v39
	;; [unrolled: 5-line block ×3, first 2 shown]
	s_waitcnt vmcnt(0)
	v_mul_f32_e32 v167, v75, v114
	v_mul_f32_e32 v169, v74, v114
	v_fma_f32 v50, v50, v44, -v61
	v_fmac_f32_e32 v64, v51, v44
	v_fma_f32 v51, v54, v46, -v65
	v_fmac_f32_e32 v68, v55, v46
	;; [unrolled: 2-line block ×7, first 2 shown]
	s_waitcnt lgkmcnt(0)
	v_sub_f32_e32 v53, v76, v53
	v_sub_f32_e32 v62, v77, v164
	;; [unrolled: 1-line block ×8, first 2 shown]
	v_fma_f32 v67, v76, 2.0, -v53
	v_fma_f32 v69, v77, 2.0, -v62
	;; [unrolled: 1-line block ×8, first 2 shown]
	v_sub_f32_e32 v74, v53, v63
	v_add_f32_e32 v57, v62, v57
	v_sub_f32_e32 v75, v56, v66
	v_add_f32_e32 v76, v65, v60
	v_sub_f32_e32 v55, v78, v55
	v_sub_f32_e32 v77, v79, v157
	;; [unrolled: 1-line block ×10, first 2 shown]
	v_fma_f32 v158, v53, 2.0, -v74
	v_fma_f32 v159, v62, 2.0, -v57
	v_sub_f32_e32 v52, v48, v52
	v_sub_f32_e32 v53, v71, v73
	v_fma_f32 v73, v65, 2.0, -v76
	v_fmamk_f32 v62, v75, 0x3f3504f3, v74
	v_fmamk_f32 v63, v76, 0x3f3504f3, v57
	v_fma_f32 v78, v78, 2.0, -v55
	v_fma_f32 v79, v79, 2.0, -v77
	;; [unrolled: 1-line block ×8, first 2 shown]
	v_sub_f32_e32 v160, v55, v60
	v_add_f32_e32 v161, v77, v59
	v_sub_f32_e32 v162, v58, v66
	v_add_f32_e32 v163, v157, v61
	v_fma_f32 v56, v56, 2.0, -v75
	v_fma_f32 v164, v67, 2.0, -v49
	;; [unrolled: 1-line block ×5, first 2 shown]
	v_fmamk_f32 v67, v73, 0xbf3504f3, v159
	v_add_f32_e32 v61, v70, v52
	v_fmac_f32_e32 v62, 0xbf3504f3, v76
	v_fmac_f32_e32 v63, 0x3f3504f3, v75
	v_sub_f32_e32 v71, v78, v51
	v_sub_f32_e32 v76, v79, v65
	v_fma_f32 v165, v55, 2.0, -v160
	v_fma_f32 v166, v77, 2.0, -v161
	v_sub_f32_e32 v51, v50, v54
	v_sub_f32_e32 v52, v68, v64
	v_fma_f32 v77, v58, 2.0, -v162
	v_fma_f32 v157, v157, 2.0, -v163
	v_fmamk_f32 v66, v56, 0xbf3504f3, v158
	v_fmamk_f32 v54, v162, 0x3f3504f3, v160
	;; [unrolled: 1-line block ×3, first 2 shown]
	v_sub_f32_e32 v65, v69, v59
	v_fmac_f32_e32 v67, 0x3f3504f3, v56
	v_fma_f32 v75, v57, 2.0, -v63
	v_fma_f32 v78, v78, 2.0, -v71
	;; [unrolled: 1-line block ×5, first 2 shown]
	v_fmamk_f32 v58, v77, 0xbf3504f3, v165
	v_fmamk_f32 v59, v157, 0xbf3504f3, v166
	v_sub_f32_e32 v60, v49, v53
	v_sub_f32_e32 v64, v164, v48
	v_fmac_f32_e32 v66, 0xbf3504f3, v73
	v_sub_f32_e32 v52, v71, v52
	v_add_f32_e32 v53, v76, v51
	v_fmac_f32_e32 v54, 0xbf3504f3, v163
	v_fmac_f32_e32 v55, 0x3f3504f3, v162
	v_sub_f32_e32 v56, v78, v56
	v_sub_f32_e32 v57, v79, v57
	v_fmac_f32_e32 v58, 0xbf3504f3, v157
	v_fmac_f32_e32 v59, 0x3f3504f3, v77
	v_fma_f32 v72, v49, 2.0, -v60
	v_fma_f32 v73, v70, 2.0, -v61
	;; [unrolled: 1-line block ×15, first 2 shown]
	ds_write2_b64 v155, v[60:61], v[52:53] offset0:72 offset1:174
	ds_write2_b64 v156, v[62:63], v[54:55] offset0:148 offset1:250
	;; [unrolled: 1-line block ×6, first 2 shown]
	ds_write2_b64 v129, v[48:49], v[76:77] offset1:102
	ds_write2_b64 v121, v[50:51], v[78:79] offset0:76 offset1:178
	s_waitcnt lgkmcnt(0)
	s_barrier
	buffer_gl0_inv
	s_and_saveexec_b32 s8, vcc_lo
	s_cbranch_execz .LBB0_13
; %bb.12:
	s_add_u32 s2, s12, 0x3300
	s_addc_u32 s3, s13, 0
	v_add_co_u32 v161, s1, s2, v124
	global_load_dwordx2 v[121:122], v124, s[2:3]
	v_add_co_ci_u32_e64 v162, null, s3, 0, s1
	v_add_co_u32 v152, s1, 0x800, v161
	v_or_b32_e32 v158, 0xc00, v124
	v_add_co_ci_u32_e64 v153, s1, 0, v162, s1
	v_add_co_u32 v154, s1, 0x1000, v161
	v_add_co_ci_u32_e64 v155, s1, 0, v162, s1
	v_add_co_u32 v156, s1, 0x1800, v161
	v_or_b32_e32 v159, 0x1800, v124
	v_add_co_ci_u32_e64 v157, s1, 0, v162, s1
	s_clause 0x5
	global_load_dwordx2 v[184:185], v124, s[2:3] offset:768
	global_load_dwordx2 v[186:187], v124, s[2:3] offset:1536
	global_load_dwordx2 v[188:189], v[152:153], off offset:256
	global_load_dwordx2 v[190:191], v[154:155], off offset:512
	global_load_dwordx2 v[192:193], v158, s[2:3]
	global_load_dwordx2 v[194:195], v[152:153], off offset:1792
	v_add_co_u32 v152, s1, 0x2000, v161
	v_add_co_ci_u32_e64 v153, s1, 0, v162, s1
	s_clause 0x2
	global_load_dwordx2 v[196:197], v[154:155], off offset:1280
	global_load_dwordx2 v[198:199], v159, s[2:3]
	global_load_dwordx2 v[200:201], v[156:157], off offset:768
	v_add_co_u32 v154, s1, 0x2800, v161
	v_or_b32_e32 v160, 0x2400, v124
	v_add_co_ci_u32_e64 v155, s1, 0, v162, s1
	s_clause 0x4
	global_load_dwordx2 v[202:203], v[156:157], off offset:1536
	global_load_dwordx2 v[204:205], v[152:153], off offset:256
	global_load_dwordx2 v[206:207], v160, s[2:3]
	global_load_dwordx2 v[208:209], v[154:155], off offset:512
	global_load_dwordx2 v[210:211], v[152:153], off offset:1792
	v_or_b32_e32 v152, 0x3000, v124
	s_clause 0x1
	global_load_dwordx2 v[212:213], v[154:155], off offset:1280
	global_load_dwordx2 v[214:215], v152, s[2:3]
	ds_read_b64 v[152:153], v129
	v_add_nc_u32_e32 v216, 0x800, v124
	v_add_nc_u32_e32 v217, 0xc00, v124
	v_add_nc_u32_e32 v218, 0x1400, v124
	v_add_nc_u32_e32 v219, 0x1800, v124
	v_add_nc_u32_e32 v220, 0x2000, v124
	v_add_nc_u32_e32 v221, 0x2400, v124
	v_add_nc_u32_e32 v222, 0x2c00, v124
	s_waitcnt vmcnt(16) lgkmcnt(0)
	v_mul_f32_e32 v154, v153, v122
	v_mul_f32_e32 v155, v152, v122
	v_fma_f32 v154, v152, v121, -v154
	v_fmac_f32_e32 v155, v153, v121
	ds_write_b64 v129, v[154:155]
	ds_read2_b64 v[152:155], v124 offset0:96 offset1:192
	ds_read2_b64 v[156:159], v216 offset0:32 offset1:128
	;; [unrolled: 1-line block ×8, first 2 shown]
	s_waitcnt vmcnt(15) lgkmcnt(7)
	v_mul_f32_e32 v121, v153, v185
	v_mul_f32_e32 v122, v152, v185
	s_waitcnt vmcnt(14)
	v_mul_f32_e32 v223, v155, v187
	v_mul_f32_e32 v185, v154, v187
	s_waitcnt vmcnt(13) lgkmcnt(6)
	v_mul_f32_e32 v224, v157, v189
	v_mul_f32_e32 v187, v156, v189
	s_waitcnt vmcnt(11)
	v_mul_f32_e32 v225, v159, v193
	v_mul_f32_e32 v189, v158, v193
	s_waitcnt vmcnt(10) lgkmcnt(5)
	v_mul_f32_e32 v226, v161, v195
	v_mul_f32_e32 v193, v160, v195
	;; [unrolled: 1-line block ×4, first 2 shown]
	s_waitcnt vmcnt(9) lgkmcnt(4)
	v_mul_f32_e32 v228, v165, v197
	v_mul_f32_e32 v191, v164, v197
	s_waitcnt vmcnt(8)
	v_mul_f32_e32 v229, v167, v199
	v_mul_f32_e32 v197, v166, v199
	s_waitcnt vmcnt(7) lgkmcnt(3)
	v_mul_f32_e32 v230, v169, v201
	v_mul_f32_e32 v199, v168, v201
	s_waitcnt vmcnt(6)
	v_mul_f32_e32 v231, v171, v203
	v_mul_f32_e32 v201, v170, v203
	;; [unrolled: 6-line block ×3, first 2 shown]
	s_waitcnt vmcnt(2) lgkmcnt(1)
	v_mul_f32_e32 v234, v177, v211
	v_mul_f32_e32 v207, v176, v211
	;; [unrolled: 1-line block ×4, first 2 shown]
	s_waitcnt vmcnt(1) lgkmcnt(0)
	v_mul_f32_e32 v236, v181, v213
	v_mul_f32_e32 v209, v180, v213
	s_waitcnt vmcnt(0)
	v_mul_f32_e32 v237, v183, v215
	v_mul_f32_e32 v213, v182, v215
	v_fma_f32 v121, v152, v184, -v121
	v_fmac_f32_e32 v122, v153, v184
	v_fma_f32 v184, v154, v186, -v223
	v_fmac_f32_e32 v185, v155, v186
	;; [unrolled: 2-line block ×16, first 2 shown]
	ds_write2_b64 v124, v[121:122], v[184:185] offset0:96 offset1:192
	ds_write2_b64 v216, v[186:187], v[188:189] offset0:32 offset1:128
	ds_write2_b64 v217, v[192:193], v[194:195] offset0:96 offset1:192
	ds_write2_b64 v218, v[190:191], v[196:197] offset0:32 offset1:128
	ds_write2_b64 v219, v[198:199], v[200:201] offset0:96 offset1:192
	ds_write2_b64 v220, v[202:203], v[204:205] offset0:32 offset1:128
	ds_write2_b64 v221, v[206:207], v[210:211] offset0:96 offset1:192
	ds_write2_b64 v222, v[208:209], v[212:213] offset0:32 offset1:128
.LBB0_13:
	s_or_b32 exec_lo, exec_lo, s8
	s_waitcnt lgkmcnt(0)
	s_barrier
	buffer_gl0_inv
	s_and_saveexec_b32 s1, vcc_lo
	s_cbranch_execz .LBB0_15
; %bb.14:
	v_add_nc_u32_e32 v52, 0x400, v129
	v_add_nc_u32_e32 v53, 0x800, v129
	;; [unrolled: 1-line block ×3, first 2 shown]
	ds_read2_b64 v[48:51], v129 offset1:96
	v_add_nc_u32_e32 v55, 0x2000, v129
	ds_read2_b64 v[72:75], v52 offset0:64 offset1:160
	ds_read2_b64 v[64:67], v53 offset0:128 offset1:224
	v_add_nc_u32_e32 v52, 0x1800, v129
	v_add_nc_u32_e32 v53, 0x1c00, v129
	;; [unrolled: 1-line block ×3, first 2 shown]
	ds_read2_b64 v[60:63], v54 offset0:64 offset1:160
	ds_read2_b64 v[76:79], v52 offset1:96
	ds_read2_b64 v[68:71], v53 offset0:64 offset1:160
	ds_read2_b64 v[56:59], v55 offset0:128 offset1:224
	;; [unrolled: 1-line block ×3, first 2 shown]
	ds_read_b64 v[119:120], v129 offset:12288
.LBB0_15:
	s_or_b32 exec_lo, exec_lo, s1
	s_waitcnt lgkmcnt(0)
	v_sub_f32_e32 v195, v51, v120
	v_add_f32_e32 v196, v120, v51
	v_add_f32_e32 v194, v119, v50
	v_sub_f32_e32 v197, v50, v119
	v_sub_f32_e32 v131, v73, v55
	v_mul_f32_e32 v198, 0xbeb8f4ab, v195
	v_mul_f32_e32 v199, 0x3f6eb680, v196
	v_add_f32_e32 v169, v55, v73
	v_add_f32_e32 v152, v54, v72
	v_sub_f32_e32 v180, v72, v54
	v_fma_f32 v121, 0x3f6eb680, v194, -v198
	v_fmamk_f32 v122, v197, 0xbeb8f4ab, v199
	v_mul_f32_e32 v80, 0xbf2c7751, v131
	v_mul_f32_e32 v123, 0x3f3d2fb0, v169
	v_sub_f32_e32 v132, v75, v53
	v_add_f32_e32 v175, v53, v75
	v_add_f32_e32 v121, v48, v121
	;; [unrolled: 1-line block ×3, first 2 shown]
	v_fma_f32 v155, 0x3f3d2fb0, v152, -v80
	v_fmamk_f32 v157, v180, 0xbf2c7751, v123
	v_add_f32_e32 v153, v52, v74
	v_mul_f32_e32 v203, 0xbf65296c, v132
	v_sub_f32_e32 v156, v74, v52
	v_mul_f32_e32 v202, 0x3ee437d1, v175
	v_sub_f32_e32 v133, v65, v59
	v_add_f32_e32 v176, v59, v65
	v_add_f32_e32 v121, v155, v121
	v_add_f32_e32 v122, v157, v122
	v_fma_f32 v158, 0x3ee437d1, v153, -v203
	v_fmamk_f32 v159, v156, 0xbf65296c, v202
	v_add_f32_e32 v155, v58, v64
	v_sub_f32_e32 v157, v64, v58
	v_mul_f32_e32 v233, 0xbf7ee86f, v133
	v_mul_f32_e32 v170, 0x3dbcf732, v176
	v_sub_f32_e32 v167, v67, v57
	v_add_f32_e32 v177, v57, v67
	v_add_f32_e32 v121, v158, v121
	;; [unrolled: 1-line block ×3, first 2 shown]
	v_fma_f32 v159, 0x3dbcf732, v155, -v233
	v_fmamk_f32 v161, v157, 0xbf7ee86f, v170
	v_add_f32_e32 v158, v56, v66
	v_mul_f32_e32 v171, 0xbf763a35, v167
	v_sub_f32_e32 v160, v66, v56
	v_mul_f32_e32 v172, 0xbe8c1d8e, v177
	v_sub_f32_e32 v166, v61, v71
	v_add_f32_e32 v121, v159, v121
	v_add_f32_e32 v122, v161, v122
	v_fma_f32 v162, 0xbe8c1d8e, v158, -v171
	v_add_f32_e32 v178, v71, v61
	v_fmamk_f32 v163, v160, 0xbf763a35, v172
	v_add_f32_e32 v159, v70, v60
	v_mul_f32_e32 v174, 0xbf4c4adb, v166
	v_sub_f32_e32 v161, v60, v70
	v_mul_f32_e32 v154, 0xbf1a4643, v178
	v_add_f32_e32 v121, v162, v121
	v_add_f32_e32 v122, v163, v122
	v_sub_f32_e32 v168, v63, v69
	v_fma_f32 v163, 0xbf1a4643, v159, -v174
	v_add_f32_e32 v179, v69, v63
	v_fmamk_f32 v164, v161, 0xbf4c4adb, v154
	v_add_f32_e32 v162, v68, v62
	v_mul_f32_e32 v181, 0xbf06c442, v168
	v_add_f32_e32 v121, v163, v121
	v_sub_f32_e32 v163, v62, v68
	v_mul_f32_e32 v182, 0xbf59a7d5, v179
	v_sub_f32_e32 v134, v77, v79
	v_add_f32_e32 v173, v79, v77
	v_add_f32_e32 v122, v164, v122
	v_fma_f32 v200, 0xbf59a7d5, v162, -v181
	v_fmamk_f32 v201, v163, 0xbf06c442, v182
	v_add_f32_e32 v164, v78, v76
	v_sub_f32_e32 v165, v76, v78
	v_mul_f32_e32 v183, 0xbe3c28d5, v134
	v_mul_f32_e32 v184, 0xbf7ba420, v173
	v_add_f32_e32 v121, v200, v121
	v_add_f32_e32 v122, v201, v122
	v_fma_f32 v200, 0xbf7ba420, v164, -v183
	v_fmamk_f32 v201, v165, 0xbe3c28d5, v184
	s_barrier
	buffer_gl0_inv
	v_add_f32_e32 v121, v200, v121
	v_add_f32_e32 v122, v201, v122
	s_and_saveexec_b32 s1, vcc_lo
	s_cbranch_execz .LBB0_17
; %bb.16:
	v_add_f32_e32 v51, v51, v49
	v_add_f32_e32 v50, v50, v48
	v_mul_f32_e32 v210, 0x3e3c28d5, v156
	v_mul_f32_e32 v211, 0x3f763a35, v157
	;; [unrolled: 1-line block ×3, first 2 shown]
	v_add_f32_e32 v51, v73, v51
	v_add_f32_e32 v50, v72, v50
	v_mul_f32_e32 v72, 0xbe3c28d5, v195
	v_mul_f32_e32 v213, 0xbf4c4adb, v131
	;; [unrolled: 1-line block ×3, first 2 shown]
	v_add_f32_e32 v51, v75, v51
	v_add_f32_e32 v50, v74, v50
	v_mul_f32_e32 v74, 0xbf06c442, v195
	v_fma_f32 v73, 0xbf7ba420, v194, -v72
	v_fmac_f32_e32 v72, 0xbf7ba420, v194
	v_add_f32_e32 v51, v65, v51
	v_add_f32_e32 v50, v64, v50
	v_mul_f32_e32 v64, 0xbf4c4adb, v197
	v_mul_f32_e32 v65, 0xbf763a35, v197
	v_fma_f32 v75, 0xbf59a7d5, v194, -v74
	v_add_f32_e32 v51, v67, v51
	v_add_f32_e32 v50, v66, v50
	v_mul_f32_e32 v66, 0xbf7ee86f, v197
	v_mul_f32_e32 v67, 0xbf65296c, v197
	v_fmac_f32_e32 v74, 0xbf59a7d5, v194
	v_add_f32_e32 v51, v61, v51
	v_add_f32_e32 v50, v60, v50
	v_mul_f32_e32 v60, 0xbeb8f4ab, v197
	v_mul_f32_e32 v61, 0x3f6eb680, v194
	v_add_f32_e32 v75, v48, v75
	v_add_f32_e32 v51, v63, v51
	;; [unrolled: 1-line block ×3, first 2 shown]
	v_mul_f32_e32 v62, 0xbe3c28d5, v197
	v_mul_f32_e32 v63, 0xbf06c442, v197
	v_sub_f32_e32 v60, v199, v60
	v_add_f32_e32 v51, v77, v51
	v_add_f32_e32 v50, v76, v50
	v_mul_f32_e32 v76, 0xbf4c4adb, v195
	v_add_f32_e32 v61, v61, v198
	v_add_f32_e32 v73, v48, v73
	;; [unrolled: 1-line block ×4, first 2 shown]
	v_mul_f32_e32 v78, 0xbf763a35, v195
	v_fma_f32 v77, 0xbf1a4643, v194, -v76
	v_fmac_f32_e32 v76, 0xbf1a4643, v194
	v_add_f32_e32 v51, v69, v51
	v_add_f32_e32 v50, v68, v50
	v_mul_f32_e32 v68, 0x3f3d2fb0, v196
	v_fmamk_f32 v69, v196, 0xbf7ba420, v62
	v_fma_f32 v79, 0xbe8c1d8e, v194, -v78
	v_add_f32_e32 v51, v71, v51
	v_add_f32_e32 v50, v70, v50
	v_fmamk_f32 v71, v197, 0x3f2c7751, v68
	v_fmac_f32_e32 v68, 0xbf2c7751, v197
	v_mul_f32_e32 v197, 0xbf65296c, v195
	v_add_f32_e32 v51, v57, v51
	v_add_f32_e32 v50, v56, v50
	v_fma_f32 v56, 0xbf7ba420, v196, -v62
	v_fmamk_f32 v57, v196, 0xbf59a7d5, v63
	v_fma_f32 v62, 0xbf59a7d5, v196, -v63
	v_add_f32_e32 v51, v59, v51
	v_add_f32_e32 v50, v58, v50
	v_fmamk_f32 v58, v196, 0xbf1a4643, v64
	v_fma_f32 v59, 0xbf1a4643, v196, -v64
	v_fmamk_f32 v63, v196, 0xbe8c1d8e, v65
	v_fma_f32 v64, 0xbe8c1d8e, v196, -v65
	v_fmamk_f32 v65, v196, 0x3dbcf732, v66
	v_fma_f32 v66, 0x3dbcf732, v196, -v66
	v_fmamk_f32 v70, v196, 0x3ee437d1, v67
	v_fma_f32 v67, 0x3ee437d1, v196, -v67
	v_mul_f32_e32 v196, 0xbf7ee86f, v195
	v_mul_f32_e32 v195, 0xbf2c7751, v195
	v_fma_f32 v199, 0x3ee437d1, v194, -v197
	v_fmac_f32_e32 v78, 0xbe8c1d8e, v194
	v_fmac_f32_e32 v197, 0x3ee437d1, v194
	v_fma_f32 v198, 0x3dbcf732, v194, -v196
	v_fmac_f32_e32 v196, 0x3dbcf732, v194
	v_fmamk_f32 v200, v194, 0x3f3d2fb0, v195
	v_fma_f32 v194, 0x3f3d2fb0, v194, -v195
	v_add_f32_e32 v195, v48, v199
	v_add_f32_e32 v199, v49, v57
	;; [unrolled: 1-line block ×8, first 2 shown]
	buffer_store_dword v56, off, s[20:23], 0 offset:88 ; 4-byte Folded Spill
	v_add_f32_e32 v56, v49, v59
	v_add_f32_e32 v74, v48, v74
	;; [unrolled: 1-line block ×5, first 2 shown]
	buffer_store_dword v56, off, s[20:23], 0 offset:80 ; 4-byte Folded Spill
	v_add_f32_e32 v56, v49, v64
	v_add_f32_e32 v63, v49, v63
	;; [unrolled: 1-line block ×4, first 2 shown]
	v_mul_f32_e32 v215, 0xbf7ee86f, v163
	buffer_store_dword v56, off, s[20:23], 0 offset:76 ; 4-byte Folded Spill
	v_add_f32_e32 v56, v48, v78
	v_mul_f32_e32 v216, 0x3f763a35, v133
	v_mul_f32_e32 v217, 0x3f2c7751, v167
	v_mul_f32_e32 v218, 0xbeb8f4ab, v166
	v_mul_f32_e32 v219, 0xbf7ee86f, v168
	buffer_store_dword v56, off, s[20:23], 0 offset:72 ; 4-byte Folded Spill
	v_add_f32_e32 v56, v49, v66
	v_mul_f32_e32 v220, 0xbf06c442, v165
	v_mul_f32_e32 v221, 0xbf06c442, v134
	v_mul_f32_e32 v222, 0xbe3c28d5, v180
	;; [unrolled: 6-line block ×5, first 2 shown]
	v_mul_f32_e32 v237, 0x3f06c442, v131
	buffer_store_dword v56, off, s[20:23], 0 offset:64 ; 4-byte Folded Spill
	v_add_f32_e32 v56, v49, v71
	v_mul_f32_e32 v71, 0x3f2c7751, v156
	v_mov_b32_e32 v205, v149
	v_mov_b32_e32 v149, v238
	v_mul_f32_e32 v238, 0x3f2c7751, v132
	buffer_store_dword v56, off, s[20:23], 0 offset:40 ; 4-byte Folded Spill
	v_add_f32_e32 v56, v48, v200
	v_mov_b32_e32 v209, v150
	v_mov_b32_e32 v150, v239
	v_mul_f32_e32 v239, 0xbeb8f4ab, v163
	v_mov_b32_e32 v208, v151
	buffer_store_dword v56, off, s[20:23], 0 offset:36 ; 4-byte Folded Spill
	v_add_f32_e32 v56, v49, v60
	v_add_f32_e32 v49, v49, v68
	v_mov_b32_e32 v151, v240
	v_mul_f32_e32 v240, 0xbf65296c, v133
	v_mov_b32_e32 v78, v181
	buffer_store_dword v56, off, s[20:23], 0 offset:60 ; 4-byte Folded Spill
	v_add_f32_e32 v56, v48, v61
	v_add_f32_e32 v48, v48, v194
	buffer_store_dword v49, off, s[20:23], 0 offset:32 ; 4-byte Folded Spill
	v_add_f32_e32 v49, v52, v50
	v_mul_f32_e32 v194, 0xbf4c4adb, v180
	v_mov_b32_e32 v181, v242
	buffer_store_dword v48, off, s[20:23], 0 offset:28 ; 4-byte Folded Spill
	v_add_f32_e32 v48, v53, v51
	v_fmamk_f32 v51, v175, 0xbe8c1d8e, v223
	v_mul_f32_e32 v53, 0x3f4c4adb, v163
	v_mul_f32_e32 v242, 0x3f7ee86f, v166
	v_mov_b32_e32 v206, v243
	v_add_f32_e32 v48, v55, v48
	v_fmamk_f32 v55, v175, 0x3f3d2fb0, v71
	v_mul_f32_e32 v243, 0xbeb8f4ab, v168
	buffer_store_dword v183, off, s[20:23], 0 offset:84 ; 4-byte Folded Spill
	v_mov_b32_e32 v183, v244
	buffer_store_dword v48, off, s[20:23], 0 offset:20 ; 4-byte Folded Spill
	v_add_f32_e32 v48, v54, v49
	v_fmamk_f32 v49, v175, 0xbf7ba420, v210
	v_mul_f32_e32 v244, 0xbf4c4adb, v165
	v_mov_b32_e32 v185, v245
	v_mul_f32_e32 v245, 0xbf4c4adb, v134
	buffer_store_dword v48, off, s[20:23], 0 offset:24 ; 4-byte Folded Spill
	v_fmamk_f32 v48, v169, 0xbf1a4643, v194
	v_mul_f32_e32 v68, 0x3f763a35, v180
	v_mov_b32_e32 v204, v246
	v_mul_f32_e32 v246, 0xbeb8f4ab, v156
	v_mul_f32_e32 v247, 0xbf06c442, v157
	v_add_f32_e32 v48, v48, v70
	v_mul_f32_e32 v70, 0x3f06c442, v180
	v_mul_f32_e32 v248, 0x3f7ee86f, v160
	;; [unrolled: 1-line block ×4, first 2 shown]
	v_add_f32_e32 v48, v49, v48
	v_fmamk_f32 v49, v176, 0xbe8c1d8e, v211
	v_mul_f32_e32 v251, 0xbe3c28d5, v163
	v_mul_f32_e32 v252, 0xbf06c442, v133
	;; [unrolled: 1-line block ×4, first 2 shown]
	v_add_f32_e32 v48, v49, v48
	v_fmamk_f32 v49, v177, 0x3f3d2fb0, v212
	v_mul_f32_e32 v255, 0xbe3c28d5, v168
	v_mov_b32_e32 v52, v182
	v_mov_b32_e32 v182, v123
	v_mul_f32_e32 v123, 0x3f65296c, v165
	v_add_f32_e32 v48, v49, v48
	v_fma_f32 v49, 0xbf1a4643, v152, -v213
	v_mul_f32_e32 v125, 0x3f65296c, v134
	v_mul_f32_e32 v66, 0x3f65296c, v180
	;; [unrolled: 1-line block ×4, first 2 shown]
	v_add_f32_e32 v49, v49, v195
	v_mul_f32_e32 v195, 0xbeb8f4ab, v161
	v_mul_f32_e32 v127, 0x3f65296c, v131
	v_fmamk_f32 v61, v175, 0x3dbcf732, v67
	v_mov_b32_e32 v228, v128
	v_mov_b32_e32 v128, v174
	v_fmamk_f32 v50, v178, 0x3f6eb680, v195
	v_mov_b32_e32 v174, v131
	v_mul_f32_e32 v131, 0xbf7ee86f, v132
	buffer_store_dword v124, off, s[20:23], 0 offset:16 ; 4-byte Folded Spill
	v_mov_b32_e32 v124, v132
	v_add_f32_e32 v48, v50, v48
	v_fma_f32 v50, 0xbf7ba420, v153, -v214
	v_mul_f32_e32 v132, 0x3f2c7751, v163
	buffer_store_dword v135, off, s[20:23], 0 offset:12 ; 4-byte Folded Spill
	v_mul_f32_e32 v135, 0xbe3c28d5, v166
	buffer_store_dword v136, off, s[20:23], 0 ; 4-byte Folded Spill
	v_add_f32_e32 v49, v50, v49
	v_fmamk_f32 v50, v179, 0x3dbcf732, v215
	v_mul_f32_e32 v136, 0x3f2c7751, v168
	buffer_store_dword v137, off, s[20:23], 0 offset:8 ; 4-byte Folded Spill
	v_mul_f32_e32 v137, 0xbf763a35, v165
	buffer_store_dword v138, off, s[20:23], 0 offset:4 ; 4-byte Folded Spill
	v_add_f32_e32 v48, v50, v48
	v_fma_f32 v50, 0xbe8c1d8e, v155, -v216
	v_mul_f32_e32 v64, 0x3eb8f4ab, v180
	v_fma_f32 v71, 0x3f3d2fb0, v175, -v71
	v_mov_b32_e32 v186, v139
	v_mul_f32_e32 v139, 0xbf4c4adb, v160
	v_add_f32_e32 v49, v50, v49
	v_fma_f32 v50, 0x3f3d2fb0, v158, -v217
	v_mov_b32_e32 v187, v140
	v_mul_f32_e32 v140, 0x3eb8f4ab, v174
	v_mov_b32_e32 v188, v141
	v_mov_b32_e32 v189, v142
	v_add_f32_e32 v49, v50, v49
	v_fma_f32 v50, 0x3f6eb680, v159, -v218
	v_mov_b32_e32 v190, v143
	v_mov_b32_e32 v191, v144
	;; [unrolled: 1-line block ×3, first 2 shown]
	v_fma_f32 v67, 0x3dbcf732, v175, -v67
	v_add_f32_e32 v49, v50, v49
	v_fma_f32 v50, 0x3dbcf732, v162, -v219
	v_mov_b32_e32 v193, v146
	buffer_store_dword v56, off, s[20:23], 0 offset:56 ; 4-byte Folded Spill
	v_mov_b32_e32 v56, v166
	v_mov_b32_e32 v207, v148
	v_add_f32_e32 v50, v50, v49
	v_fmamk_f32 v49, v173, 0xbf59a7d5, v220
	v_fmac_f32_e32 v213, 0xbf1a4643, v152
	v_fmac_f32_e32 v214, 0xbf7ba420, v153
	;; [unrolled: 1-line block ×4, first 2 shown]
	v_add_f32_e32 v201, v49, v48
	v_fma_f32 v48, 0xbf59a7d5, v164, -v221
	v_mov_b32_e32 v49, v170
	v_mov_b32_e32 v170, v133
	v_fmac_f32_e32 v218, 0x3f6eb680, v159
	v_fmac_f32_e32 v219, 0x3dbcf732, v162
	v_add_f32_e32 v200, v48, v50
	v_fmamk_f32 v50, v169, 0xbf7ba420, v222
	v_mul_f32_e32 v48, 0x3f2c7751, v165
	v_mul_f32_e32 v133, 0x3f4c4adb, v170
	v_fmac_f32_e32 v221, 0xbf59a7d5, v164
	v_add_f32_e32 v50, v50, v65
	v_mul_f32_e32 v65, 0xbf06c442, v156
	buffer_store_dword v48, off, s[20:23], 0 offset:44 ; 4-byte Folded Spill
	v_add_f32_e32 v50, v51, v50
	v_fmamk_f32 v51, v176, 0x3f6eb680, v224
	v_add_f32_e32 v50, v51, v50
	v_fmamk_f32 v51, v177, 0x3ee437d1, v225
	v_add_f32_e32 v50, v51, v50
	v_fma_f32 v51, 0xbf7ba420, v152, -v226
	v_fmac_f32_e32 v226, 0xbf7ba420, v152
	v_add_f32_e32 v51, v51, v198
	v_mul_f32_e32 v198, 0xbf06c442, v161
	v_fmamk_f32 v54, v178, 0xbf59a7d5, v198
	v_add_f32_e32 v50, v54, v50
	v_fma_f32 v54, 0xbe8c1d8e, v153, -v227
	v_fmac_f32_e32 v227, 0xbe8c1d8e, v153
	v_add_f32_e32 v51, v54, v51
	v_fmamk_f32 v54, v179, 0xbf1a4643, v53
	v_add_f32_e32 v50, v54, v50
	v_fma_f32 v54, 0x3f6eb680, v155, -v229
	v_fmac_f32_e32 v229, 0x3f6eb680, v155
	v_add_f32_e32 v51, v54, v51
	v_fma_f32 v54, 0x3ee437d1, v158, -v230
	v_fmac_f32_e32 v230, 0x3ee437d1, v158
	;; [unrolled: 3-line block ×4, first 2 shown]
	v_add_f32_e32 v54, v54, v51
	v_fmamk_f32 v51, v173, 0x3f3d2fb0, v48
	v_mov_b32_e32 v48, v184
	v_mov_b32_e32 v184, v80
	v_add_f32_e32 v197, v51, v50
	v_fma_f32 v50, 0x3f3d2fb0, v164, -v234
	v_mov_b32_e32 v51, v241
	v_mul_f32_e32 v241, 0xbe3c28d5, v167
	v_fmac_f32_e32 v234, 0x3f3d2fb0, v164
	v_add_f32_e32 v196, v50, v54
	v_fmamk_f32 v54, v169, 0xbf59a7d5, v70
	v_mov_b32_e32 v50, v171
	v_mov_b32_e32 v171, v134
	v_mul_f32_e32 v134, 0xbeb8f4ab, v167
	v_fma_f32 v70, 0xbf59a7d5, v169, -v70
	v_add_f32_e32 v54, v54, v63
	v_fmamk_f32 v63, v175, 0xbf59a7d5, v65
	v_mul_f32_e32 v138, 0xbf763a35, v171
	v_fma_f32 v65, 0xbf59a7d5, v175, -v65
	v_mul_f32_e32 v148, 0x3f7ee86f, v171
	v_add_f32_e32 v54, v55, v54
	v_fmamk_f32 v55, v176, 0x3ee437d1, v235
	v_add_f32_e32 v54, v55, v54
	v_fmamk_f32 v55, v177, 0xbf7ba420, v236
	v_add_f32_e32 v54, v55, v54
	v_fma_f32 v55, 0xbf59a7d5, v152, -v237
	v_fmac_f32_e32 v237, 0xbf59a7d5, v152
	v_add_f32_e32 v55, v55, v79
	v_mul_f32_e32 v79, 0x3f7ee86f, v161
	v_fmamk_f32 v59, v178, 0x3dbcf732, v79
	v_add_f32_e32 v54, v59, v54
	v_fma_f32 v59, 0x3f3d2fb0, v153, -v238
	v_fmac_f32_e32 v238, 0x3f3d2fb0, v153
	v_add_f32_e32 v55, v59, v55
	v_fmamk_f32 v59, v179, 0x3f6eb680, v239
	v_add_f32_e32 v54, v59, v54
	v_fma_f32 v59, 0x3ee437d1, v155, -v240
	v_fmac_f32_e32 v240, 0x3ee437d1, v155
	v_add_f32_e32 v55, v59, v55
	v_fma_f32 v59, 0xbf7ba420, v158, -v241
	v_fmac_f32_e32 v241, 0xbf7ba420, v158
	;; [unrolled: 3-line block ×4, first 2 shown]
	v_add_f32_e32 v59, v59, v55
	v_fmamk_f32 v55, v173, 0xbf1a4643, v244
	v_add_f32_e32 v55, v55, v54
	v_fma_f32 v54, 0xbf1a4643, v164, -v245
	v_fmac_f32_e32 v245, 0xbf1a4643, v164
	v_add_f32_e32 v54, v54, v59
	v_fmamk_f32 v59, v169, 0xbe8c1d8e, v68
	v_fma_f32 v68, 0xbe8c1d8e, v169, -v68
	v_add_f32_e32 v58, v59, v58
	v_fmamk_f32 v59, v175, 0x3f6eb680, v246
	v_add_f32_e32 v58, v59, v58
	v_fmamk_f32 v59, v176, 0xbf59a7d5, v247
	;; [unrolled: 2-line block ×3, first 2 shown]
	v_add_f32_e32 v58, v59, v58
	v_fma_f32 v59, 0xbe8c1d8e, v152, -v249
	v_fmac_f32_e32 v249, 0xbe8c1d8e, v152
	v_add_f32_e32 v59, v59, v77
	v_mul_f32_e32 v77, 0xbf2c7751, v161
	v_fmamk_f32 v60, v178, 0x3f3d2fb0, v77
	v_add_f32_e32 v58, v60, v58
	v_fma_f32 v60, 0x3f6eb680, v153, -v250
	v_fmac_f32_e32 v250, 0x3f6eb680, v153
	v_add_f32_e32 v59, v60, v59
	v_fmamk_f32 v60, v179, 0xbf7ba420, v251
	v_add_f32_e32 v58, v60, v58
	v_fma_f32 v60, 0xbf59a7d5, v155, -v252
	v_fmac_f32_e32 v252, 0xbf59a7d5, v155
	v_add_f32_e32 v59, v60, v59
	v_fma_f32 v60, 0x3dbcf732, v158, -v253
	v_fmac_f32_e32 v253, 0x3dbcf732, v158
	v_add_f32_e32 v59, v60, v59
	v_fma_f32 v60, 0x3f3d2fb0, v159, -v254
	v_fmac_f32_e32 v254, 0x3f3d2fb0, v159
	v_add_f32_e32 v59, v60, v59
	v_fma_f32 v60, 0xbf7ba420, v162, -v255
	v_fmac_f32_e32 v255, 0xbf7ba420, v162
	v_add_f32_e32 v60, v60, v59
	v_fmamk_f32 v59, v173, 0x3ee437d1, v123
	v_add_f32_e32 v59, v59, v58
	v_fma_f32 v58, 0x3ee437d1, v164, -v125
	v_fmac_f32_e32 v125, 0x3ee437d1, v164
	v_add_f32_e32 v58, v58, v60
	v_fmamk_f32 v60, v169, 0x3ee437d1, v66
	v_fma_f32 v66, 0x3ee437d1, v169, -v66
	v_add_f32_e32 v60, v60, v199
	v_mul_f32_e32 v199, 0x3f4c4adb, v157
	v_add_f32_e32 v60, v61, v60
	v_fmamk_f32 v61, v176, 0xbf1a4643, v199
	v_add_f32_e32 v60, v61, v60
	v_fmamk_f32 v61, v177, 0x3f6eb680, v126
	v_add_f32_e32 v60, v61, v60
	v_fma_f32 v61, 0x3ee437d1, v152, -v127
	v_fmac_f32_e32 v127, 0x3ee437d1, v152
	v_add_f32_e32 v61, v61, v75
	v_mul_f32_e32 v75, 0xbe3c28d5, v161
	v_fmamk_f32 v62, v178, 0xbf7ba420, v75
	v_add_f32_e32 v60, v62, v60
	v_fma_f32 v62, 0x3dbcf732, v153, -v131
	v_fmac_f32_e32 v131, 0x3dbcf732, v153
	v_add_f32_e32 v61, v62, v61
	v_fmamk_f32 v62, v179, 0x3f3d2fb0, v132
	v_add_f32_e32 v60, v62, v60
	v_fma_f32 v62, 0xbf1a4643, v155, -v133
	v_fmac_f32_e32 v133, 0xbf1a4643, v155
	v_add_f32_e32 v61, v62, v61
	v_fma_f32 v62, 0x3f6eb680, v158, -v134
	v_fmac_f32_e32 v134, 0x3f6eb680, v158
	;; [unrolled: 3-line block ×4, first 2 shown]
	v_add_f32_e32 v62, v62, v61
	v_fmamk_f32 v61, v173, 0xbe8c1d8e, v137
	v_add_f32_e32 v61, v61, v60
	v_fma_f32 v60, 0xbe8c1d8e, v164, -v138
	v_fmac_f32_e32 v138, 0xbe8c1d8e, v164
	v_add_f32_e32 v60, v60, v62
	v_fmamk_f32 v62, v169, 0x3f6eb680, v64
	v_fma_f32 v64, 0x3f6eb680, v169, -v64
	v_add_f32_e32 v62, v62, v69
	v_add_f32_e32 v64, v64, v57
	buffer_load_dword v57, off, s[20:23], 0 offset:88 ; 4-byte Folded Reload
	v_mul_f32_e32 v69, 0x3f2c7751, v157
	v_add_f32_e32 v62, v63, v62
	v_add_f32_e32 v64, v65, v64
	v_fmamk_f32 v63, v176, 0x3f3d2fb0, v69
	v_fma_f32 v65, 0x3f3d2fb0, v176, -v69
	v_fma_f32 v69, 0xbf1a4643, v177, -v139
	v_add_f32_e32 v62, v63, v62
	v_fmamk_f32 v63, v177, 0xbf1a4643, v139
	v_add_f32_e32 v64, v65, v64
	v_mov_b32_e32 v139, v186
	v_add_f32_e32 v62, v63, v62
	v_fma_f32 v63, 0x3f6eb680, v152, -v140
	v_fmac_f32_e32 v140, 0x3f6eb680, v152
	v_add_f32_e32 v64, v69, v64
	v_add_f32_e32 v63, v63, v73
	v_mul_f32_e32 v73, 0x3f65296c, v161
	v_add_f32_e32 v65, v140, v72
	v_fma_f32 v72, 0x3dbcf732, v177, -v248
	v_mov_b32_e32 v140, v187
	v_fmamk_f32 v141, v178, 0x3ee437d1, v73
	v_fma_f32 v69, 0x3ee437d1, v178, -v73
	v_fma_f32 v73, 0xbf7ba420, v175, -v210
	v_add_f32_e32 v62, v141, v62
	v_mul_f32_e32 v141, 0xbf06c442, v124
	v_add_f32_e32 v64, v69, v64
	v_fma_f32 v142, 0xbf59a7d5, v153, -v141
	v_fmac_f32_e32 v141, 0xbf59a7d5, v153
	v_add_f32_e32 v63, v142, v63
	v_mul_f32_e32 v142, 0xbf763a35, v163
	v_add_f32_e32 v65, v141, v65
	v_mov_b32_e32 v141, v188
	v_fmamk_f32 v143, v179, 0xbe8c1d8e, v142
	v_fma_f32 v69, 0xbe8c1d8e, v179, -v142
	v_mov_b32_e32 v142, v189
	v_add_f32_e32 v62, v143, v62
	v_mul_f32_e32 v143, 0x3f2c7751, v170
	v_add_f32_e32 v64, v69, v64
	v_fma_f32 v144, 0x3f3d2fb0, v155, -v143
	v_fmac_f32_e32 v143, 0x3f3d2fb0, v155
	v_add_f32_e32 v63, v144, v63
	v_mul_f32_e32 v144, 0xbf4c4adb, v167
	v_add_f32_e32 v65, v143, v65
	v_mov_b32_e32 v143, v190
	v_fma_f32 v145, 0xbf1a4643, v158, -v144
	v_fmac_f32_e32 v144, 0xbf1a4643, v158
	v_add_f32_e32 v63, v145, v63
	v_mul_f32_e32 v145, 0x3f65296c, v166
	v_mov_b32_e32 v166, v147
	v_mul_f32_e32 v147, 0x3f7ee86f, v165
	v_add_f32_e32 v65, v144, v65
	v_mov_b32_e32 v144, v191
	v_fma_f32 v146, 0x3ee437d1, v159, -v145
	v_fmac_f32_e32 v145, 0x3ee437d1, v159
	v_add_f32_e32 v63, v146, v63
	v_mul_f32_e32 v146, 0xbf763a35, v168
	v_add_f32_e32 v65, v145, v65
	v_mov_b32_e32 v145, v192
	v_fma_f32 v80, 0xbe8c1d8e, v162, -v146
	v_fmac_f32_e32 v146, 0xbe8c1d8e, v162
	v_add_f32_e32 v80, v80, v63
	v_fmamk_f32 v63, v173, 0x3dbcf732, v147
	v_add_f32_e32 v69, v146, v65
	v_fma_f32 v65, 0x3dbcf732, v173, -v147
	v_mov_b32_e32 v146, v193
	v_mov_b32_e32 v147, v166
	v_add_f32_e32 v63, v63, v62
	v_fma_f32 v62, 0x3dbcf732, v164, -v148
	v_fmac_f32_e32 v148, 0x3dbcf732, v164
	v_add_f32_e32 v65, v65, v64
	v_add_f32_e32 v62, v62, v80
	;; [unrolled: 1-line block ×3, first 2 shown]
	v_fma_f32 v69, 0xbf7ba420, v178, -v75
	v_mul_f32_e32 v75, 0x3f3d2fb0, v152
	v_mov_b32_e32 v148, v207
	v_add_f32_e32 v75, v75, v184
	s_waitcnt vmcnt(0)
	v_add_f32_e32 v66, v66, v57
	buffer_load_dword v57, off, s[20:23], 0 offset:80 ; 4-byte Folded Reload
	v_add_f32_e32 v66, v67, v66
	v_fma_f32 v67, 0xbf1a4643, v176, -v199
	v_add_f32_e32 v66, v67, v66
	v_fma_f32 v67, 0x3f6eb680, v177, -v126
	v_mul_f32_e32 v126, 0xbf7ee86f, v174
	v_add_f32_e32 v66, v67, v66
	v_add_f32_e32 v67, v127, v74
	v_fma_f32 v74, 0x3f3d2fb0, v177, -v212
	v_mul_f32_e32 v127, 0xbf7ba420, v176
	v_add_f32_e32 v66, v69, v66
	v_add_f32_e32 v67, v131, v67
	v_fma_f32 v69, 0x3f3d2fb0, v179, -v132
	v_mul_f32_e32 v132, 0xbf4c4adb, v124
	buffer_load_dword v124, off, s[20:23], 0 offset:16 ; 4-byte Folded Reload
	v_fmamk_f32 v131, v157, 0x3e3c28d5, v127
	v_add_f32_e32 v67, v133, v67
	v_add_f32_e32 v66, v69, v66
	v_mul_f32_e32 v133, 0xbf59a7d5, v177
	v_fmac_f32_e32 v127, 0xbe3c28d5, v157
	v_add_f32_e32 v67, v134, v67
	v_fmamk_f32 v134, v160, 0xbf06c442, v133
	v_fmac_f32_e32 v133, 0x3f06c442, v160
	v_add_f32_e32 v67, v135, v67
	v_mul_f32_e32 v135, 0xbe3c28d5, v170
	v_add_f32_e32 v69, v136, v67
	v_fma_f32 v67, 0xbe8c1d8e, v173, -v137
	v_mul_f32_e32 v136, 0xbe8c1d8e, v178
	v_add_f32_e32 v67, v67, v66
	v_add_f32_e32 v66, v138, v69
	v_fma_f32 v69, 0x3f6eb680, v175, -v246
	v_fmamk_f32 v137, v161, 0xbf763a35, v136
	v_mul_f32_e32 v138, 0x3f65296c, v168
	v_fmac_f32_e32 v136, 0x3f763a35, v161
	v_mov_b32_e32 v246, v204
	s_waitcnt vmcnt(1)
	v_add_f32_e32 v68, v68, v57
	buffer_load_dword v57, off, s[20:23], 0 offset:76 ; 4-byte Folded Reload
	v_add_f32_e32 v68, v69, v68
	v_fma_f32 v69, 0xbf59a7d5, v176, -v247
	v_add_f32_e32 v68, v69, v68
	v_add_f32_e32 v69, v249, v76
	v_mul_f32_e32 v76, 0xbf65296c, v156
	v_add_f32_e32 v68, v72, v68
	v_add_f32_e32 v69, v250, v69
	v_fma_f32 v72, 0x3f3d2fb0, v178, -v77
	v_sub_f32_e32 v76, v202, v76
	v_mul_f32_e32 v77, 0x3ee437d1, v153
	v_add_f32_e32 v69, v252, v69
	v_add_f32_e32 v68, v72, v68
	v_fma_f32 v72, 0xbf7ba420, v179, -v251
	v_add_f32_e32 v77, v77, v203
	v_add_f32_e32 v69, v253, v69
	;; [unrolled: 1-line block ×5, first 2 shown]
	v_fma_f32 v69, 0x3ee437d1, v173, -v123
	v_mul_f32_e32 v123, 0x3dbcf732, v169
	v_add_f32_e32 v69, v69, v68
	v_add_f32_e32 v68, v125, v72
	v_fma_f32 v72, 0xbf7ba420, v177, -v236
	s_waitcnt vmcnt(0)
	v_add_f32_e32 v70, v70, v57
	buffer_load_dword v57, off, s[20:23], 0 offset:72 ; 4-byte Folded Reload
	v_add_f32_e32 v70, v71, v70
	v_fma_f32 v71, 0x3ee437d1, v176, -v235
	v_add_f32_e32 v70, v71, v70
	v_add_f32_e32 v70, v72, v70
	v_fma_f32 v72, 0x3dbcf732, v178, -v79
	v_fma_f32 v79, 0xbe8c1d8e, v175, -v223
	v_add_f32_e32 v70, v72, v70
	v_fma_f32 v72, 0x3f6eb680, v179, -v239
	v_mov_b32_e32 v239, v150
	v_mov_b32_e32 v150, v209
	v_add_f32_e32 v70, v72, v70
	s_waitcnt vmcnt(0)
	v_add_f32_e32 v71, v237, v57
	v_add_f32_e32 v71, v238, v71
	v_mov_b32_e32 v238, v149
	v_mov_b32_e32 v149, v205
	v_add_f32_e32 v71, v240, v71
	v_mov_b32_e32 v240, v151
	v_mov_b32_e32 v151, v208
	v_add_f32_e32 v71, v241, v71
	v_mov_b32_e32 v241, v51
	buffer_load_dword v51, off, s[20:23], 0 offset:68 ; 4-byte Folded Reload
	v_add_f32_e32 v71, v242, v71
	v_mov_b32_e32 v242, v181
	v_add_f32_e32 v72, v243, v71
	v_fma_f32 v71, 0xbf1a4643, v173, -v244
	v_mov_b32_e32 v243, v206
	v_mov_b32_e32 v244, v183
	v_add_f32_e32 v71, v71, v70
	v_add_f32_e32 v70, v245, v72
	v_fma_f32 v72, 0xbf1a4643, v169, -v194
	v_mov_b32_e32 v245, v185
	s_waitcnt vmcnt(0)
	v_add_f32_e32 v72, v72, v51
	buffer_load_dword v51, off, s[20:23], 0 offset:64 ; 4-byte Folded Reload
	v_add_f32_e32 v72, v73, v72
	v_fma_f32 v73, 0xbe8c1d8e, v176, -v211
	v_add_f32_e32 v72, v73, v72
	v_add_f32_e32 v72, v74, v72
	v_fma_f32 v74, 0x3f6eb680, v178, -v195
	v_add_f32_e32 v72, v74, v72
	v_fma_f32 v74, 0x3dbcf732, v179, -v215
	v_add_f32_e32 v72, v74, v72
	s_waitcnt vmcnt(0)
	v_add_f32_e32 v73, v213, v51
	buffer_load_dword v51, off, s[20:23], 0 offset:60 ; 4-byte Folded Reload
	v_add_f32_e32 v73, v214, v73
	v_add_f32_e32 v73, v216, v73
	;; [unrolled: 1-line block ×5, first 2 shown]
	v_fma_f32 v73, 0xbf59a7d5, v173, -v220
	v_add_f32_e32 v73, v73, v72
	v_add_f32_e32 v72, v221, v74
	v_mul_f32_e32 v74, 0xbf2c7751, v180
	v_sub_f32_e32 v74, v182, v74
	s_waitcnt vmcnt(0)
	v_add_f32_e32 v74, v74, v51
	buffer_load_dword v51, off, s[20:23], 0 offset:56 ; 4-byte Folded Reload
	v_add_f32_e32 v74, v76, v74
	v_mul_f32_e32 v76, 0xbf7ee86f, v157
	v_sub_f32_e32 v76, v49, v76
	v_add_f32_e32 v74, v76, v74
	v_mul_f32_e32 v76, 0xbf763a35, v160
	v_sub_f32_e32 v76, v172, v76
	;; [unrolled: 3-line block ×5, first 2 shown]
	buffer_load_dword v48, off, s[20:23], 0 offset:84 ; 4-byte Folded Reload
	s_waitcnt vmcnt(1)
	v_add_f32_e32 v75, v75, v51
	v_add_f32_e32 v75, v77, v75
	v_mul_f32_e32 v77, 0x3dbcf732, v155
	v_add_f32_e32 v77, v77, v233
	v_add_f32_e32 v75, v77, v75
	v_mul_f32_e32 v77, 0xbe8c1d8e, v158
	;; [unrolled: 3-line block ×3, first 2 shown]
	v_add_f32_e32 v77, v77, v128
	v_mov_b32_e32 v128, v228
	v_add_f32_e32 v75, v77, v75
	v_mul_f32_e32 v77, 0xbf59a7d5, v162
	v_add_f32_e32 v77, v77, v78
	v_add_f32_e32 v77, v77, v75
	v_mul_f32_e32 v75, 0xbf7ba420, v164
	s_waitcnt vmcnt(0)
	v_add_f32_e32 v78, v75, v48
	buffer_load_dword v48, off, s[20:23], 0 offset:52 ; 4-byte Folded Reload
	v_fma_f32 v75, 0xbf7ba420, v169, -v222
	s_waitcnt vmcnt(0)
	v_add_f32_e32 v75, v75, v48
	buffer_load_dword v48, off, s[20:23], 0 offset:48 ; 4-byte Folded Reload
	v_add_f32_e32 v75, v79, v75
	v_fma_f32 v79, 0x3f6eb680, v176, -v224
	v_add_f32_e32 v75, v79, v75
	v_fma_f32 v79, 0x3ee437d1, v177, -v225
	v_add_f32_e32 v79, v79, v75
	v_add_f32_e32 v75, v76, v74
	;; [unrolled: 1-line block ×3, first 2 shown]
	v_fmamk_f32 v77, v180, 0x3f7ee86f, v123
	v_mul_f32_e32 v78, 0xbf1a4643, v175
	v_fmac_f32_e32 v123, 0xbf7ee86f, v180
	v_fma_f32 v76, 0xbf59a7d5, v178, -v198
	v_fmamk_f32 v125, v156, 0x3f4c4adb, v78
	v_fmac_f32_e32 v78, 0xbf4c4adb, v156
	v_add_f32_e32 v76, v76, v79
	s_waitcnt vmcnt(0)
	v_add_f32_e32 v80, v226, v48
	buffer_load_dword v48, off, s[20:23], 0 offset:40 ; 4-byte Folded Reload
	v_add_f32_e32 v80, v227, v80
	v_add_f32_e32 v79, v229, v80
	v_fma_f32 v80, 0xbf1a4643, v179, -v53
	v_add_f32_e32 v79, v230, v79
	v_add_f32_e32 v76, v80, v76
	;; [unrolled: 1-line block ×4, first 2 shown]
	s_waitcnt vmcnt(0)
	v_add_f32_e32 v77, v77, v48
	buffer_load_dword v48, off, s[20:23], 0 offset:36 ; 4-byte Folded Reload
	v_add_f32_e32 v77, v125, v77
	v_fmamk_f32 v125, v152, 0x3dbcf732, v126
	v_add_f32_e32 v77, v131, v77
	v_fmamk_f32 v131, v153, 0xbf1a4643, v132
	v_add_f32_e32 v77, v134, v77
	v_mul_f32_e32 v134, 0x3f06c442, v167
	v_add_f32_e32 v77, v137, v77
	v_mul_f32_e32 v137, 0x3f763a35, v56
	s_waitcnt vmcnt(0)
	v_add_f32_e32 v125, v125, v48
	buffer_load_dword v48, off, s[20:23], 0 offset:32 ; 4-byte Folded Reload
	v_add_f32_e32 v125, v131, v125
	v_fmamk_f32 v131, v155, 0xbf7ba420, v135
	v_add_f32_e32 v79, v131, v125
	v_fmamk_f32 v125, v158, 0xbf59a7d5, v134
	v_mul_f32_e32 v131, 0x3ee437d1, v179
	v_add_f32_e32 v79, v125, v79
	v_fma_f32 v125, 0x3dbcf732, v152, -v126
	v_fmamk_f32 v126, v163, 0xbf65296c, v131
	v_fmac_f32_e32 v131, 0x3f65296c, v163
	v_add_f32_e32 v77, v126, v77
	v_mul_f32_e32 v126, 0x3f6eb680, v173
	s_waitcnt vmcnt(0)
	v_add_f32_e32 v57, v123, v48
	buffer_load_dword v48, off, s[20:23], 0 offset:28 ; 4-byte Folded Reload
	v_fmamk_f32 v123, v159, 0xbe8c1d8e, v137
	v_add_f32_e32 v57, v78, v57
	v_fmamk_f32 v78, v162, 0x3ee437d1, v138
	v_add_f32_e32 v79, v123, v79
	v_fma_f32 v123, 0xbf7ba420, v155, -v135
	buffer_load_dword v135, off, s[20:23], 0 offset:12 ; 4-byte Folded Reload
	v_add_f32_e32 v57, v127, v57
	v_add_f32_e32 v127, v133, v57
	;; [unrolled: 1-line block ×4, first 2 shown]
	s_waitcnt vmcnt(1)
	v_add_f32_e32 v56, v125, v48
	buffer_load_dword v48, off, s[20:23], 0 offset:44 ; 4-byte Folded Reload
	v_fma_f32 v125, 0xbf1a4643, v153, -v132
	v_mul_f32_e32 v132, 0x3eb8f4ab, v171
	v_add_f32_e32 v56, v125, v56
	v_add_f32_e32 v125, v78, v79
	v_fma_f32 v79, 0xbf59a7d5, v158, -v134
	v_fma_f32 v127, 0x3f6eb680, v164, -v132
	v_add_f32_e32 v56, v123, v56
	v_fmamk_f32 v123, v165, 0xbeb8f4ab, v126
	v_fmac_f32_e32 v126, 0x3eb8f4ab, v165
	v_add_f32_e32 v56, v79, v56
	v_add_f32_e32 v77, v123, v77
	v_fma_f32 v123, 0xbe8c1d8e, v159, -v137
	v_add_f32_e32 v53, v123, v56
	v_fma_f32 v56, 0x3ee437d1, v162, -v138
	v_add_f32_e32 v123, v56, v53
	v_add_f32_e32 v56, v234, v80
	;; [unrolled: 1-line block ×4, first 2 shown]
	s_waitcnt vmcnt(0)
	v_fma_f32 v78, 0x3f3d2fb0, v173, -v48
	s_clause 0x3
	buffer_load_dword v137, off, s[20:23], 0 offset:8
	buffer_load_dword v48, off, s[20:23], 0 offset:20
	buffer_load_dword v136, off, s[20:23], 0
	buffer_load_dword v138, off, s[20:23], 0 offset:4
	v_add_f32_e32 v57, v78, v76
	v_fmamk_f32 v76, v164, 0x3f6eb680, v132
	v_add_f32_e32 v76, v76, v125
	s_waitcnt vmcnt(2)
	v_add_f32_e32 v79, v120, v48
	buffer_load_dword v48, off, s[20:23], 0 offset:24 ; 4-byte Folded Reload
	v_mov_b32_e32 v120, 3
	s_waitcnt vmcnt(0)
	v_add_f32_e32 v78, v119, v48
	v_mul_lo_u16 v119, v128, 17
	v_lshlrev_b32_sdwa v119, v120, v119 dst_sel:DWORD dst_unused:UNUSED_PAD src0_sel:DWORD src1_sel:WORD_0
	ds_write2_b64 v119, v[78:79], v[74:75] offset1:1
	ds_write2_b64 v119, v[76:77], v[72:73] offset0:2 offset1:3
	ds_write2_b64 v119, v[56:57], v[70:71] offset0:4 offset1:5
	;; [unrolled: 1-line block ×7, first 2 shown]
	ds_write_b64 v119, v[121:122] offset:128
.LBB0_17:
	s_or_b32 exec_lo, exec_lo, s1
	v_add_nc_u32_e32 v80, 0x1800, v129
	v_add_nc_u32_e32 v119, 0x1c00, v129
	s_waitcnt lgkmcnt(0)
	s_waitcnt_vscnt null, 0x0
	s_barrier
	buffer_gl0_inv
	ds_read2_b64 v[48:51], v80 offset0:48 offset1:150
	ds_read2_b64 v[52:55], v119 offset0:124 offset1:226
	ds_read2_b64 v[56:59], v129 offset1:102
	v_add_nc_u32_e32 v120, 0x2400, v129
	v_add_nc_u32_e32 v123, 0x400, v129
	;; [unrolled: 1-line block ×5, first 2 shown]
	ds_read2_b64 v[60:63], v120 offset0:72 offset1:174
	ds_read2_b64 v[64:67], v123 offset0:76 offset1:178
	;; [unrolled: 1-line block ×5, first 2 shown]
	s_waitcnt lgkmcnt(0)
	s_barrier
	buffer_gl0_inv
	v_mul_f32_e32 v131, v92, v49
	v_mul_f32_e32 v132, v96, v51
	;; [unrolled: 1-line block ×7, first 2 shown]
	v_fmac_f32_e32 v131, v91, v48
	v_fmac_f32_e32 v132, v95, v50
	v_mul_f32_e32 v48, v90, v54
	v_mul_f32_e32 v90, v88, v61
	;; [unrolled: 1-line block ×3, first 2 shown]
	v_fma_f32 v49, v91, v49, -v92
	v_fma_f32 v51, v95, v51, -v96
	v_fmac_f32_e32 v133, v93, v52
	v_fma_f32 v91, v93, v53, -v94
	v_fmac_f32_e32 v134, v89, v54
	v_mul_f32_e32 v88, v86, v63
	v_fma_f32 v89, v89, v55, -v48
	v_mul_f32_e32 v48, v86, v62
	v_fmac_f32_e32 v90, v87, v60
	v_fma_f32 v86, v87, v61, -v50
	v_mul_f32_e32 v87, v82, v77
	v_mul_f32_e32 v50, v82, v76
	;; [unrolled: 1-line block ×4, first 2 shown]
	v_fmac_f32_e32 v88, v85, v62
	v_fma_f32 v85, v85, v63, -v48
	v_fmac_f32_e32 v87, v81, v76
	v_sub_f32_e32 v48, v56, v131
	v_fma_f32 v77, v81, v77, -v50
	v_fmac_f32_e32 v82, v83, v78
	v_fma_f32 v79, v83, v79, -v52
	v_sub_f32_e32 v49, v57, v49
	v_sub_f32_e32 v52, v58, v132
	;; [unrolled: 1-line block ×9, first 2 shown]
	v_fma_f32 v50, v56, 2.0, -v48
	v_fma_f32 v51, v57, 2.0, -v49
	;; [unrolled: 1-line block ×7, first 2 shown]
	v_sub_f32_e32 v66, v70, v88
	v_fma_f32 v65, v67, 2.0, -v61
	v_sub_f32_e32 v67, v71, v85
	v_sub_f32_e32 v76, v72, v87
	;; [unrolled: 1-line block ×5, first 2 shown]
	v_fma_f32 v68, v68, 2.0, -v62
	v_fma_f32 v69, v69, 2.0, -v63
	;; [unrolled: 1-line block ×8, first 2 shown]
	ds_write2_b64 v141, v[50:51], v[48:49] offset1:17
	ds_write2_b64 v142, v[56:57], v[52:53] offset1:17
	;; [unrolled: 1-line block ×8, first 2 shown]
	s_waitcnt lgkmcnt(0)
	s_barrier
	buffer_gl0_inv
	ds_read2_b64 v[48:51], v80 offset0:48 offset1:150
	ds_read2_b64 v[52:55], v119 offset0:124 offset1:226
	ds_read2_b64 v[56:59], v129 offset1:102
	ds_read2_b64 v[60:63], v120 offset0:72 offset1:174
	ds_read2_b64 v[64:67], v123 offset0:76 offset1:178
	;; [unrolled: 1-line block ×5, first 2 shown]
	s_waitcnt lgkmcnt(0)
	s_barrier
	buffer_gl0_inv
	v_mul_f32_e32 v81, v112, v49
	v_mul_f32_e32 v82, v112, v48
	;; [unrolled: 1-line block ×5, first 2 shown]
	v_fmac_f32_e32 v81, v111, v48
	v_mul_f32_e32 v48, v108, v50
	v_fma_f32 v49, v111, v49, -v82
	v_mul_f32_e32 v82, v110, v53
	v_fmac_f32_e32 v83, v107, v50
	v_mul_f32_e32 v50, v104, v60
	v_fma_f32 v51, v107, v51, -v48
	v_mul_f32_e32 v48, v106, v54
	v_mul_f32_e32 v86, v104, v61
	v_fmac_f32_e32 v82, v109, v52
	v_fma_f32 v84, v109, v53, -v84
	v_fmac_f32_e32 v85, v105, v54
	v_mul_f32_e32 v87, v102, v63
	v_fma_f32 v88, v105, v55, -v48
	v_mul_f32_e32 v48, v102, v62
	v_fma_f32 v89, v103, v61, -v50
	v_mul_f32_e32 v90, v100, v77
	v_mul_f32_e32 v50, v100, v76
	;; [unrolled: 1-line block ×4, first 2 shown]
	v_fmac_f32_e32 v86, v103, v60
	v_fmac_f32_e32 v87, v101, v62
	v_fma_f32 v91, v101, v63, -v48
	v_fmac_f32_e32 v90, v99, v76
	v_sub_f32_e32 v48, v56, v81
	v_fma_f32 v76, v99, v77, -v50
	v_fmac_f32_e32 v92, v97, v78
	v_fma_f32 v77, v97, v79, -v52
	v_sub_f32_e32 v49, v57, v49
	v_sub_f32_e32 v52, v58, v83
	;; [unrolled: 1-line block ×9, first 2 shown]
	v_fma_f32 v50, v56, 2.0, -v48
	v_fma_f32 v51, v57, 2.0, -v49
	;; [unrolled: 1-line block ×7, first 2 shown]
	v_sub_f32_e32 v66, v70, v87
	v_fma_f32 v65, v67, 2.0, -v61
	v_sub_f32_e32 v67, v71, v91
	v_sub_f32_e32 v78, v72, v90
	;; [unrolled: 1-line block ×5, first 2 shown]
	v_fma_f32 v68, v68, 2.0, -v62
	v_fma_f32 v69, v69, 2.0, -v63
	;; [unrolled: 1-line block ×8, first 2 shown]
	ds_write2_b64 v149, v[50:51], v[48:49] offset1:34
	ds_write2_b64 v150, v[56:57], v[52:53] offset1:34
	;; [unrolled: 1-line block ×8, first 2 shown]
	v_add_nc_u32_e32 v48, 0xc00, v129
	v_add_nc_u32_e32 v52, 0x2000, v129
	s_waitcnt lgkmcnt(0)
	s_barrier
	buffer_gl0_inv
	ds_read2_b64 v[56:59], v129 offset1:102
	ds_read2_b64 v[48:51], v48 offset0:24 offset1:160
	ds_read2_b64 v[72:75], v52 offset0:64 offset1:166
	;; [unrolled: 1-line block ×6, first 2 shown]
	ds_read_b64 v[78:79], v129 offset:11968
	s_and_saveexec_b32 s1, s0
	s_cbranch_execz .LBB0_19
; %bb.18:
	ds_read_b64 v[76:77], v129 offset:4080
	ds_read_b64 v[121:122], v129 offset:8432
	;; [unrolled: 1-line block ×3, first 2 shown]
.LBB0_19:
	s_or_b32 exec_lo, exec_lo, s1
	s_waitcnt lgkmcnt(5)
	v_mul_f32_e32 v81, v15, v73
	v_mul_f32_e32 v15, v15, v72
	;; [unrolled: 1-line block ×4, first 2 shown]
	s_waitcnt lgkmcnt(0)
	v_fmac_f32_e32 v81, v14, v72
	v_fma_f32 v14, v14, v73, -v15
	v_mul_f32_e32 v15, v23, v75
	v_mul_f32_e32 v23, v23, v74
	v_fmac_f32_e32 v80, v12, v50
	v_mul_f32_e32 v50, v9, v61
	v_mul_f32_e32 v9, v9, v60
	v_fmac_f32_e32 v15, v22, v74
	v_fma_f32 v22, v22, v75, -v23
	v_mul_f32_e32 v23, v19, v65
	v_mul_f32_e32 v19, v19, v64
	v_fma_f32 v12, v12, v51, -v13
	v_fmac_f32_e32 v50, v8, v60
	v_fma_f32 v60, v8, v61, -v9
	v_mul_f32_e32 v61, v5, v63
	v_fma_f32 v19, v18, v65, -v19
	v_mul_f32_e32 v5, v5, v62
	v_mul_f32_e32 v65, v7, v79
	;; [unrolled: 1-line block ×7, first 2 shown]
	v_fmac_f32_e32 v61, v4, v62
	v_fma_f32 v62, v4, v63, -v5
	v_add_f32_e32 v4, v80, v81
	v_add_f32_e32 v5, v56, v80
	v_fma_f32 v63, v6, v79, -v7
	v_add_f32_e32 v7, v12, v14
	v_fmac_f32_e32 v13, v20, v68
	v_fma_f32 v20, v20, v69, -v21
	v_fmac_f32_e32 v23, v18, v64
	v_fmac_f32_e32 v51, v10, v66
	v_fma_f32 v64, v10, v67, -v11
	v_fmac_f32_e32 v65, v6, v78
	v_fma_f32 v4, -0.5, v4, v56
	v_sub_f32_e32 v9, v12, v14
	v_add_f32_e32 v6, v5, v81
	v_add_f32_e32 v10, v57, v12
	v_fma_f32 v5, -0.5, v7, v57
	v_sub_f32_e32 v11, v80, v81
	v_mul_f32_e32 v21, v17, v71
	v_mul_f32_e32 v17, v17, v70
	v_fmamk_f32 v8, v9, 0xbf5db3d7, v4
	v_fmac_f32_e32 v4, 0x3f5db3d7, v9
	v_add_f32_e32 v7, v10, v14
	v_add_f32_e32 v10, v13, v15
	v_fmamk_f32 v9, v11, 0x3f5db3d7, v5
	v_add_f32_e32 v12, v58, v13
	v_fmac_f32_e32 v5, 0xbf5db3d7, v11
	v_add_f32_e32 v11, v20, v22
	v_fmac_f32_e32 v21, v16, v70
	v_fma_f32 v17, v16, v71, -v17
	v_fma_f32 v58, -0.5, v10, v58
	v_sub_f32_e32 v14, v20, v22
	v_add_f32_e32 v10, v12, v15
	v_add_f32_e32 v16, v59, v20
	v_fmac_f32_e32 v59, -0.5, v11
	v_sub_f32_e32 v15, v13, v15
	v_fmamk_f32 v12, v14, 0xbf5db3d7, v58
	v_fmac_f32_e32 v58, 0x3f5db3d7, v14
	v_add_f32_e32 v14, v21, v23
	v_add_f32_e32 v11, v16, v22
	v_fmamk_f32 v13, v15, 0x3f5db3d7, v59
	v_fmac_f32_e32 v59, 0xbf5db3d7, v15
	v_add_f32_e32 v15, v17, v19
	v_add_f32_e32 v16, v52, v21
	v_fma_f32 v14, -0.5, v14, v52
	v_sub_f32_e32 v20, v17, v19
	v_add_f32_e32 v17, v53, v17
	v_fma_f32 v15, -0.5, v15, v53
	v_sub_f32_e32 v21, v21, v23
	v_add_f32_e32 v16, v16, v23
	v_fmamk_f32 v18, v20, 0xbf5db3d7, v14
	v_fmac_f32_e32 v14, 0x3f5db3d7, v20
	v_add_f32_e32 v17, v17, v19
	v_add_f32_e32 v20, v50, v51
	v_fmamk_f32 v19, v21, 0x3f5db3d7, v15
	v_fmac_f32_e32 v15, 0xbf5db3d7, v21
	v_add_f32_e32 v21, v60, v64
	v_add_f32_e32 v22, v54, v50
	v_fma_f32 v54, -0.5, v20, v54
	v_sub_f32_e32 v23, v60, v64
	v_add_f32_e32 v52, v55, v60
	v_fmac_f32_e32 v55, -0.5, v21
	v_sub_f32_e32 v50, v50, v51
	v_add_f32_e32 v20, v22, v51
	v_fmamk_f32 v22, v23, 0xbf5db3d7, v54
	v_fmac_f32_e32 v54, 0x3f5db3d7, v23
	v_add_f32_e32 v51, v61, v65
	v_fmamk_f32 v23, v50, 0x3f5db3d7, v55
	v_fmac_f32_e32 v55, 0xbf5db3d7, v50
	v_add_f32_e32 v50, v62, v63
	v_add_f32_e32 v21, v52, v64
	;; [unrolled: 1-line block ×3, first 2 shown]
	v_fma_f32 v48, -0.5, v51, v48
	v_sub_f32_e32 v51, v62, v63
	v_add_f32_e32 v53, v49, v62
	v_fmac_f32_e32 v49, -0.5, v50
	v_sub_f32_e32 v56, v61, v65
	v_add_f32_e32 v50, v52, v65
	v_fmamk_f32 v52, v51, 0xbf5db3d7, v48
	v_fmac_f32_e32 v48, 0x3f5db3d7, v51
	v_add_f32_e32 v51, v53, v63
	v_fmamk_f32 v53, v56, 0x3f5db3d7, v49
	v_fmac_f32_e32 v49, 0xbf5db3d7, v56
	s_barrier
	buffer_gl0_inv
	ds_write2_b64 v246, v[6:7], v[8:9] offset1:68
	ds_write_b64 v246, v[4:5] offset:1088
	ds_write2_b64 v245, v[10:11], v[12:13] offset1:68
	ds_write_b64 v245, v[58:59] offset:1088
	;; [unrolled: 2-line block ×5, first 2 shown]
	s_and_saveexec_b32 s1, s0
	s_cbranch_execz .LBB0_21
; %bb.20:
	v_mul_f32_e32 v4, v1, v121
	v_mul_f32_e32 v5, v3, v117
	;; [unrolled: 1-line block ×4, first 2 shown]
	v_fma_f32 v3, v0, v122, -v4
	v_fma_f32 v4, v2, v118, -v5
	v_fmac_f32_e32 v6, v0, v121
	v_mov_b32_e32 v0, 3
	v_fmac_f32_e32 v7, v2, v117
	v_add_f32_e32 v5, v77, v3
	v_add_f32_e32 v1, v3, v4
	v_sub_f32_e32 v9, v3, v4
	v_lshlrev_b32_sdwa v8, v0, v130 dst_sel:DWORD dst_unused:UNUSED_PAD src0_sel:DWORD src1_sel:WORD_0
	v_add_f32_e32 v0, v6, v7
	v_sub_f32_e32 v2, v6, v7
	v_fma_f32 v1, -0.5, v1, v77
	v_add_f32_e32 v6, v76, v6
	v_add_f32_e32 v3, v5, v4
	v_fma_f32 v0, -0.5, v0, v76
	v_fmamk_f32 v5, v2, 0xbf5db3d7, v1
	v_fmac_f32_e32 v1, 0x3f5db3d7, v2
	v_add_f32_e32 v2, v6, v7
	v_fmamk_f32 v4, v9, 0x3f5db3d7, v0
	v_add_nc_u32_e32 v6, 0x2800, v8
	v_fmac_f32_e32 v0, 0xbf5db3d7, v9
	ds_write2_b64 v6, v[2:3], v[0:1] offset0:148 offset1:216
	ds_write_b64 v8, v[4:5] offset:12512
.LBB0_21:
	s_or_b32 exec_lo, exec_lo, s1
	v_add_nc_u32_e32 v56, 0x400, v129
	v_add_nc_u32_e32 v57, 0x800, v129
	;; [unrolled: 1-line block ×4, first 2 shown]
	s_waitcnt lgkmcnt(0)
	s_barrier
	buffer_gl0_inv
	ds_read2_b64 v[0:3], v56 offset0:76 offset1:178
	ds_read2_b64 v[4:7], v57 offset0:152 offset1:254
	;; [unrolled: 1-line block ×4, first 2 shown]
	v_add_nc_u32_e32 v60, 0x1c00, v129
	v_add_nc_u32_e32 v61, 0x2400, v129
	v_add_nc_u32_e32 v62, 0x2800, v129
	ds_read2_b64 v[16:19], v60 offset0:124 offset1:226
	ds_read2_b64 v[20:23], v129 offset1:102
	ds_read2_b64 v[48:51], v61 offset0:72 offset1:174
	ds_read2_b64 v[52:55], v62 offset0:148 offset1:250
	s_waitcnt lgkmcnt(6)
	v_mul_f32_e32 v64, v43, v5
	v_mul_f32_e32 v63, v41, v1
	v_mul_f32_e32 v41, v41, v0
	v_mul_f32_e32 v43, v43, v4
	s_waitcnt lgkmcnt(5)
	v_mul_f32_e32 v65, v33, v9
	v_mul_f32_e32 v33, v33, v8
	v_fmac_f32_e32 v63, v40, v0
	v_fma_f32 v0, v40, v1, -v41
	v_fma_f32 v1, v42, v5, -v43
	v_fmac_f32_e32 v65, v32, v8
	s_waitcnt lgkmcnt(3)
	v_mul_f32_e32 v5, v29, v17
	v_mul_f32_e32 v8, v29, v16
	;; [unrolled: 1-line block ×5, first 2 shown]
	v_fmac_f32_e32 v5, v28, v16
	v_fma_f32 v8, v28, v17, -v8
	v_mul_f32_e32 v28, v45, v3
	v_fmac_f32_e32 v64, v42, v4
	v_fma_f32 v4, v32, v9, -v33
	v_fmac_f32_e32 v66, v34, v12
	v_fma_f32 v9, v34, v13, -v35
	v_fmac_f32_e32 v28, v44, v2
	v_mul_f32_e32 v2, v47, v6
	s_waitcnt lgkmcnt(1)
	v_mul_f32_e32 v12, v31, v49
	v_mul_f32_e32 v13, v31, v48
	s_waitcnt lgkmcnt(0)
	v_mul_f32_e32 v16, v116, v53
	v_mul_f32_e32 v17, v116, v52
	v_fma_f32 v29, v44, v3, -v29
	v_mul_f32_e32 v3, v37, v10
	v_fma_f32 v32, v46, v7, -v2
	v_mul_f32_e32 v33, v39, v15
	v_mul_f32_e32 v2, v39, v14
	v_fmac_f32_e32 v12, v30, v48
	v_fma_f32 v13, v30, v49, -v13
	v_fmac_f32_e32 v16, v115, v52
	v_mul_f32_e32 v30, v47, v7
	v_fma_f32 v17, v115, v53, -v17
	v_fma_f32 v34, v36, v11, -v3
	v_mul_f32_e32 v35, v25, v19
	v_fmac_f32_e32 v33, v38, v14
	v_fma_f32 v14, v38, v15, -v2
	v_mul_f32_e32 v2, v25, v18
	v_mul_f32_e32 v3, v27, v50
	v_fmac_f32_e32 v30, v46, v6
	v_mul_f32_e32 v31, v37, v11
	v_fmac_f32_e32 v35, v24, v18
	v_fma_f32 v19, v24, v19, -v2
	v_sub_f32_e32 v2, v20, v66
	v_fma_f32 v24, v26, v51, -v3
	v_sub_f32_e32 v3, v21, v9
	v_sub_f32_e32 v6, v64, v12
	;; [unrolled: 1-line block ×6, first 2 shown]
	v_fmac_f32_e32 v31, v36, v10
	v_mul_f32_e32 v15, v27, v51
	v_fma_f32 v7, v20, 2.0, -v2
	v_sub_f32_e32 v5, v63, v5
	v_fma_f32 v10, v21, 2.0, -v3
	v_fma_f32 v11, v64, 2.0, -v6
	;; [unrolled: 1-line block ×5, first 2 shown]
	v_fmac_f32_e32 v15, v26, v50
	v_fma_f32 v12, v63, 2.0, -v5
	v_sub_f32_e32 v17, v7, v11
	v_sub_f32_e32 v20, v10, v1
	v_fma_f32 v1, v65, 2.0, -v13
	v_add_f32_e32 v21, v2, v9
	v_sub_f32_e32 v25, v3, v6
	v_add_f32_e32 v16, v5, v16
	v_sub_f32_e32 v26, v8, v13
	v_sub_f32_e32 v11, v0, v4
	v_fma_f32 v9, v10, 2.0, -v20
	v_fma_f32 v6, v2, 2.0, -v21
	v_sub_f32_e32 v10, v12, v1
	v_fma_f32 v4, v5, 2.0, -v16
	v_fma_f32 v13, v3, 2.0, -v25
	v_fma_f32 v5, v8, 2.0, -v26
	v_fma_f32 v3, v0, 2.0, -v11
	v_mul_f32_e32 v8, v114, v54
	v_mul_f32_e32 v18, v114, v55
	v_fma_f32 v7, v7, 2.0, -v17
	v_fma_f32 v2, v12, 2.0, -v10
	v_fmamk_f32 v0, v4, 0xbf3504f3, v6
	v_fmamk_f32 v1, v5, 0xbf3504f3, v13
	v_sub_f32_e32 v3, v9, v3
	v_fma_f32 v27, v113, v55, -v8
	v_add_f32_e32 v8, v17, v11
	v_fmac_f32_e32 v18, v113, v54
	v_sub_f32_e32 v2, v7, v2
	v_fmac_f32_e32 v0, 0x3f3504f3, v5
	v_fmac_f32_e32 v1, 0xbf3504f3, v4
	v_fma_f32 v5, v9, 2.0, -v3
	v_sub_f32_e32 v9, v20, v10
	v_fmamk_f32 v11, v26, 0x3f3504f3, v25
	v_fma_f32 v12, v17, 2.0, -v8
	v_sub_f32_e32 v17, v22, v33
	v_sub_f32_e32 v15, v30, v15
	v_fma_f32 v4, v7, 2.0, -v2
	v_fma_f32 v7, v13, 2.0, -v1
	v_fmamk_f32 v10, v16, 0x3f3504f3, v21
	v_fma_f32 v13, v20, 2.0, -v9
	v_fmac_f32_e32 v11, 0xbf3504f3, v16
	v_sub_f32_e32 v14, v23, v14
	v_fma_f32 v16, v22, 2.0, -v17
	v_sub_f32_e32 v20, v32, v24
	v_sub_f32_e32 v19, v29, v19
	v_fma_f32 v24, v30, 2.0, -v15
	v_sub_f32_e32 v18, v31, v18
	v_sub_f32_e32 v27, v34, v27
	;; [unrolled: 1-line block ×3, first 2 shown]
	v_fmac_f32_e32 v10, 0x3f3504f3, v26
	v_fma_f32 v23, v23, 2.0, -v14
	v_fma_f32 v26, v32, 2.0, -v20
	;; [unrolled: 1-line block ×3, first 2 shown]
	v_sub_f32_e32 v30, v16, v24
	v_fma_f32 v24, v31, 2.0, -v18
	v_add_f32_e32 v31, v17, v20
	v_fma_f32 v20, v34, 2.0, -v27
	v_fma_f32 v28, v28, 2.0, -v22
	v_sub_f32_e32 v32, v23, v26
	v_sub_f32_e32 v33, v14, v15
	v_add_f32_e32 v36, v22, v27
	v_sub_f32_e32 v27, v29, v20
	v_sub_f32_e32 v37, v19, v18
	v_sub_f32_e32 v35, v28, v24
	v_fma_f32 v23, v23, 2.0, -v32
	v_fma_f32 v34, v17, 2.0, -v31
	;; [unrolled: 1-line block ×8, first 2 shown]
	v_sub_f32_e32 v17, v23, v17
	v_fmamk_f32 v19, v24, 0xbf3504f3, v38
	v_fmamk_f32 v18, v22, 0xbf3504f3, v34
	v_fma_f32 v14, v21, 2.0, -v10
	v_sub_f32_e32 v16, v26, v15
	v_fma_f32 v21, v23, 2.0, -v17
	v_fmac_f32_e32 v19, 0xbf3504f3, v22
	v_fmamk_f32 v22, v36, 0x3f3504f3, v31
	v_fmamk_f32 v23, v37, 0x3f3504f3, v33
	v_fmac_f32_e32 v18, 0x3f3504f3, v24
	v_fma_f32 v20, v26, 2.0, -v16
	v_add_f32_e32 v26, v30, v27
	v_sub_f32_e32 v27, v32, v35
	v_fmac_f32_e32 v22, 0x3f3504f3, v37
	v_fmac_f32_e32 v23, 0xbf3504f3, v36
	v_fma_f32 v6, v6, 2.0, -v0
	v_fma_f32 v15, v25, 2.0, -v11
	;; [unrolled: 1-line block ×8, first 2 shown]
	ds_write2_b64 v129, v[4:5], v[20:21] offset1:102
	ds_write2_b64 v56, v[6:7], v[24:25] offset0:76 offset1:178
	ds_write2_b64 v57, v[12:13], v[28:29] offset0:152 offset1:254
	;; [unrolled: 1-line block ×7, first 2 shown]
	s_waitcnt lgkmcnt(0)
	s_barrier
	buffer_gl0_inv
	s_and_b32 exec_lo, exec_lo, vcc_lo
	s_cbranch_execz .LBB0_23
; %bb.22:
	global_load_dwordx2 v[0:1], v124, s[12:13]
	ds_read_b64 v[2:3], v129
	s_mov_b32 s0, 0x14141414
	s_mov_b32 s1, 0x3f441414
	v_mad_u64_u32 v[6:7], null, s4, v128, 0
	s_mul_i32 s2, s5, 0x300
	s_mul_i32 s3, s4, 0x300
	s_mul_hi_u32 s8, s4, 0x600
	s_waitcnt vmcnt(0) lgkmcnt(0)
	v_mul_f32_e32 v4, v3, v1
	v_mul_f32_e32 v1, v2, v1
	v_fmac_f32_e32 v4, v2, v0
	v_fma_f32 v2, v0, v3, -v1
	v_cvt_f64_f32_e32 v[0:1], v4
	v_cvt_f64_f32_e32 v[2:3], v2
	v_mad_u64_u32 v[4:5], null, s6, v242, 0
	s_mul_hi_u32 s6, s4, 0x300
	s_add_i32 s2, s6, s2
	v_add_co_u32 v13, s6, s12, v124
	v_add_co_ci_u32_e64 v14, null, s13, 0, s6
	v_mad_u64_u32 v[8:9], null, s7, v242, v[5:6]
	s_mul_i32 s6, s5, 0x600
	s_mul_i32 s7, s4, 0x600
	s_add_i32 s6, s8, s6
	v_mad_u64_u32 v[9:10], null, s5, v128, v[7:8]
	v_mov_b32_e32 v5, v8
	v_mul_f64 v[0:1], v[0:1], s[0:1]
	v_mul_f64 v[2:3], v[2:3], s[0:1]
	v_mov_b32_e32 v7, v9
	v_cvt_f32_f64_e32 v0, v[0:1]
	v_cvt_f32_f64_e32 v1, v[2:3]
	v_lshlrev_b64 v[2:3], 3, v[4:5]
	v_lshlrev_b64 v[4:5], 3, v[6:7]
	v_add_co_u32 v11, vcc_lo, s14, v2
	v_add_co_ci_u32_e32 v12, vcc_lo, s15, v3, vcc_lo
	v_add_co_u32 v4, vcc_lo, v11, v4
	v_add_co_ci_u32_e32 v5, vcc_lo, v12, v5, vcc_lo
	global_store_dwordx2 v[4:5], v[0:1], off
	global_load_dwordx2 v[6:7], v124, s[12:13] offset:768
	ds_read2_b64 v[0:3], v124 offset0:96 offset1:192
	v_add_co_u32 v4, vcc_lo, v4, s3
	v_add_co_ci_u32_e32 v5, vcc_lo, s2, v5, vcc_lo
	s_waitcnt vmcnt(0) lgkmcnt(0)
	v_mul_f32_e32 v8, v1, v7
	v_mul_f32_e32 v7, v0, v7
	v_fmac_f32_e32 v8, v0, v6
	v_fma_f32 v6, v6, v1, -v7
	v_cvt_f64_f32_e32 v[0:1], v8
	v_cvt_f64_f32_e32 v[6:7], v6
	v_mul_f64 v[0:1], v[0:1], s[0:1]
	v_mul_f64 v[6:7], v[6:7], s[0:1]
	v_cvt_f32_f64_e32 v0, v[0:1]
	v_cvt_f32_f64_e32 v1, v[6:7]
	global_store_dwordx2 v[4:5], v[0:1], off
	global_load_dwordx2 v[0:1], v124, s[12:13] offset:1536
	v_add_co_u32 v4, vcc_lo, v4, s3
	v_add_co_ci_u32_e32 v5, vcc_lo, s2, v5, vcc_lo
	s_waitcnt vmcnt(0)
	v_mul_f32_e32 v6, v3, v1
	v_mul_f32_e32 v1, v2, v1
	v_fmac_f32_e32 v6, v2, v0
	v_fma_f32 v2, v0, v3, -v1
	v_cvt_f64_f32_e32 v[0:1], v6
	v_cvt_f64_f32_e32 v[2:3], v2
	v_add_co_u32 v6, vcc_lo, 0x800, v13
	v_add_co_ci_u32_e32 v7, vcc_lo, 0, v14, vcc_lo
	v_mul_f64 v[0:1], v[0:1], s[0:1]
	v_mul_f64 v[2:3], v[2:3], s[0:1]
	v_cvt_f32_f64_e32 v0, v[0:1]
	v_cvt_f32_f64_e32 v1, v[2:3]
	global_store_dwordx2 v[4:5], v[0:1], off
	global_load_dwordx2 v[8:9], v[6:7], off offset:256
	v_add_nc_u32_e32 v0, 0x800, v124
	v_add_co_u32 v4, vcc_lo, v4, s3
	v_add_co_ci_u32_e32 v5, vcc_lo, s2, v5, vcc_lo
	ds_read2_b64 v[0:3], v0 offset0:32 offset1:128
	s_waitcnt vmcnt(0) lgkmcnt(0)
	v_mul_f32_e32 v10, v1, v9
	v_mul_f32_e32 v9, v0, v9
	v_fmac_f32_e32 v10, v0, v8
	v_fma_f32 v8, v8, v1, -v9
	v_cvt_f64_f32_e32 v[0:1], v10
	v_cvt_f64_f32_e32 v[8:9], v8
	v_mul_f64 v[0:1], v[0:1], s[0:1]
	v_mul_f64 v[8:9], v[8:9], s[0:1]
	v_cvt_f32_f64_e32 v0, v[0:1]
	v_cvt_f32_f64_e32 v1, v[8:9]
	v_lshlrev_b32_e32 v8, 3, v241
	global_store_dwordx2 v[4:5], v[0:1], off
	global_load_dwordx2 v[0:1], v8, s[12:13]
	s_waitcnt vmcnt(0)
	v_mul_f32_e32 v8, v3, v1
	v_mul_f32_e32 v1, v2, v1
	v_fmac_f32_e32 v8, v2, v0
	v_fma_f32 v2, v0, v3, -v1
	v_cvt_f64_f32_e32 v[0:1], v8
	v_cvt_f64_f32_e32 v[2:3], v2
	v_mad_u64_u32 v[8:9], null, s4, v241, 0
	v_mad_u64_u32 v[9:10], null, s5, v241, v[9:10]
	v_mul_f64 v[0:1], v[0:1], s[0:1]
	v_mul_f64 v[2:3], v[2:3], s[0:1]
	v_cvt_f32_f64_e32 v0, v[0:1]
	v_cvt_f32_f64_e32 v1, v[2:3]
	v_lshlrev_b64 v[2:3], 3, v[8:9]
	v_add_co_u32 v2, vcc_lo, v11, v2
	v_add_co_ci_u32_e32 v3, vcc_lo, v12, v3, vcc_lo
	v_add_co_u32 v4, vcc_lo, v4, s7
	v_add_co_ci_u32_e32 v5, vcc_lo, s6, v5, vcc_lo
	global_store_dwordx2 v[2:3], v[0:1], off
	global_load_dwordx2 v[6:7], v[6:7], off offset:1792
	v_add_nc_u32_e32 v0, 0xc00, v124
	ds_read2_b64 v[0:3], v0 offset0:96 offset1:192
	s_waitcnt vmcnt(0) lgkmcnt(0)
	v_mul_f32_e32 v8, v1, v7
	v_mul_f32_e32 v7, v0, v7
	v_fmac_f32_e32 v8, v0, v6
	v_fma_f32 v6, v6, v1, -v7
	v_cvt_f64_f32_e32 v[0:1], v8
	v_cvt_f64_f32_e32 v[6:7], v6
	v_mul_f64 v[0:1], v[0:1], s[0:1]
	v_mul_f64 v[6:7], v[6:7], s[0:1]
	v_cvt_f32_f64_e32 v0, v[0:1]
	v_cvt_f32_f64_e32 v1, v[6:7]
	v_add_co_u32 v6, vcc_lo, 0x1000, v13
	v_add_co_ci_u32_e32 v7, vcc_lo, 0, v14, vcc_lo
	global_store_dwordx2 v[4:5], v[0:1], off
	global_load_dwordx2 v[0:1], v[6:7], off offset:512
	v_add_co_u32 v4, vcc_lo, v4, s3
	v_add_co_ci_u32_e32 v5, vcc_lo, s2, v5, vcc_lo
	s_waitcnt vmcnt(0)
	v_mul_f32_e32 v8, v3, v1
	v_mul_f32_e32 v1, v2, v1
	v_fmac_f32_e32 v8, v2, v0
	v_fma_f32 v2, v0, v3, -v1
	v_cvt_f64_f32_e32 v[0:1], v8
	v_cvt_f64_f32_e32 v[2:3], v2
	v_mul_f64 v[0:1], v[0:1], s[0:1]
	v_mul_f64 v[2:3], v[2:3], s[0:1]
	v_cvt_f32_f64_e32 v0, v[0:1]
	v_cvt_f32_f64_e32 v1, v[2:3]
	global_store_dwordx2 v[4:5], v[0:1], off
	global_load_dwordx2 v[6:7], v[6:7], off offset:1280
	v_add_nc_u32_e32 v0, 0x1400, v124
	v_add_co_u32 v4, vcc_lo, v4, s3
	v_add_co_ci_u32_e32 v5, vcc_lo, s2, v5, vcc_lo
	ds_read2_b64 v[0:3], v0 offset0:32 offset1:128
	s_waitcnt vmcnt(0) lgkmcnt(0)
	v_mul_f32_e32 v8, v1, v7
	v_mul_f32_e32 v7, v0, v7
	v_fmac_f32_e32 v8, v0, v6
	v_fma_f32 v6, v6, v1, -v7
	v_cvt_f64_f32_e32 v[0:1], v8
	v_cvt_f64_f32_e32 v[6:7], v6
	v_mul_f64 v[0:1], v[0:1], s[0:1]
	v_mul_f64 v[6:7], v[6:7], s[0:1]
	v_cvt_f32_f64_e32 v0, v[0:1]
	v_cvt_f32_f64_e32 v1, v[6:7]
	v_lshlrev_b32_e32 v6, 3, v240
	global_store_dwordx2 v[4:5], v[0:1], off
	global_load_dwordx2 v[0:1], v6, s[12:13]
	s_waitcnt vmcnt(0)
	v_mul_f32_e32 v6, v3, v1
	v_mul_f32_e32 v1, v2, v1
	v_fmac_f32_e32 v6, v2, v0
	v_fma_f32 v2, v0, v3, -v1
	v_cvt_f64_f32_e32 v[0:1], v6
	v_cvt_f64_f32_e32 v[2:3], v2
	v_mad_u64_u32 v[6:7], null, s4, v240, 0
	v_mad_u64_u32 v[7:8], null, s5, v240, v[7:8]
	v_mul_f64 v[0:1], v[0:1], s[0:1]
	v_mul_f64 v[2:3], v[2:3], s[0:1]
	v_cvt_f32_f64_e32 v0, v[0:1]
	v_cvt_f32_f64_e32 v1, v[2:3]
	v_lshlrev_b64 v[2:3], 3, v[6:7]
	v_add_co_u32 v2, vcc_lo, v11, v2
	v_add_co_ci_u32_e32 v3, vcc_lo, v12, v3, vcc_lo
	v_add_co_u32 v6, vcc_lo, 0x1800, v13
	v_add_co_ci_u32_e32 v7, vcc_lo, 0, v14, vcc_lo
	;; [unrolled: 2-line block ×3, first 2 shown]
	global_store_dwordx2 v[2:3], v[0:1], off
	global_load_dwordx2 v[8:9], v[6:7], off offset:768
	v_add_nc_u32_e32 v0, 0x1800, v124
	ds_read2_b64 v[0:3], v0 offset0:96 offset1:192
	s_waitcnt vmcnt(0) lgkmcnt(0)
	v_mul_f32_e32 v10, v1, v9
	v_mul_f32_e32 v9, v0, v9
	v_fmac_f32_e32 v10, v0, v8
	v_fma_f32 v8, v8, v1, -v9
	v_cvt_f64_f32_e32 v[0:1], v10
	v_cvt_f64_f32_e32 v[8:9], v8
	v_mul_f64 v[0:1], v[0:1], s[0:1]
	v_mul_f64 v[8:9], v[8:9], s[0:1]
	v_cvt_f32_f64_e32 v0, v[0:1]
	v_cvt_f32_f64_e32 v1, v[8:9]
	global_store_dwordx2 v[4:5], v[0:1], off
	global_load_dwordx2 v[0:1], v[6:7], off offset:1536
	v_add_co_u32 v4, vcc_lo, v4, s3
	v_add_co_ci_u32_e32 v5, vcc_lo, s2, v5, vcc_lo
	s_waitcnt vmcnt(0)
	v_mul_f32_e32 v6, v3, v1
	v_mul_f32_e32 v1, v2, v1
	v_fmac_f32_e32 v6, v2, v0
	v_fma_f32 v2, v0, v3, -v1
	v_cvt_f64_f32_e32 v[0:1], v6
	v_cvt_f64_f32_e32 v[2:3], v2
	v_add_co_u32 v6, vcc_lo, 0x2000, v13
	v_add_co_ci_u32_e32 v7, vcc_lo, 0, v14, vcc_lo
	v_mul_f64 v[0:1], v[0:1], s[0:1]
	v_mul_f64 v[2:3], v[2:3], s[0:1]
	v_cvt_f32_f64_e32 v0, v[0:1]
	v_cvt_f32_f64_e32 v1, v[2:3]
	global_store_dwordx2 v[4:5], v[0:1], off
	global_load_dwordx2 v[8:9], v[6:7], off offset:256
	v_add_nc_u32_e32 v0, 0x2000, v124
	v_add_co_u32 v4, vcc_lo, v4, s3
	v_add_co_ci_u32_e32 v5, vcc_lo, s2, v5, vcc_lo
	ds_read2_b64 v[0:3], v0 offset0:32 offset1:128
	s_waitcnt vmcnt(0) lgkmcnt(0)
	v_mul_f32_e32 v10, v1, v9
	v_mul_f32_e32 v9, v0, v9
	v_fmac_f32_e32 v10, v0, v8
	v_fma_f32 v8, v8, v1, -v9
	v_cvt_f64_f32_e32 v[0:1], v10
	v_cvt_f64_f32_e32 v[8:9], v8
	v_mul_f64 v[0:1], v[0:1], s[0:1]
	v_mul_f64 v[8:9], v[8:9], s[0:1]
	v_cvt_f32_f64_e32 v0, v[0:1]
	v_cvt_f32_f64_e32 v1, v[8:9]
	v_lshlrev_b32_e32 v8, 3, v239
	global_store_dwordx2 v[4:5], v[0:1], off
	global_load_dwordx2 v[0:1], v8, s[12:13]
	s_waitcnt vmcnt(0)
	v_mul_f32_e32 v8, v3, v1
	v_mul_f32_e32 v1, v2, v1
	v_fmac_f32_e32 v8, v2, v0
	v_fma_f32 v2, v0, v3, -v1
	v_cvt_f64_f32_e32 v[0:1], v8
	v_cvt_f64_f32_e32 v[2:3], v2
	v_mad_u64_u32 v[8:9], null, s4, v239, 0
	v_mad_u64_u32 v[9:10], null, s5, v239, v[9:10]
	v_mul_f64 v[0:1], v[0:1], s[0:1]
	v_mul_f64 v[2:3], v[2:3], s[0:1]
	v_cvt_f32_f64_e32 v0, v[0:1]
	v_cvt_f32_f64_e32 v1, v[2:3]
	v_lshlrev_b64 v[2:3], 3, v[8:9]
	v_add_co_u32 v2, vcc_lo, v11, v2
	v_add_co_ci_u32_e32 v3, vcc_lo, v12, v3, vcc_lo
	v_add_co_u32 v4, vcc_lo, v4, s7
	v_add_co_ci_u32_e32 v5, vcc_lo, s6, v5, vcc_lo
	global_store_dwordx2 v[2:3], v[0:1], off
	global_load_dwordx2 v[6:7], v[6:7], off offset:1792
	v_add_nc_u32_e32 v0, 0x2400, v124
	ds_read2_b64 v[0:3], v0 offset0:96 offset1:192
	s_waitcnt vmcnt(0) lgkmcnt(0)
	v_mul_f32_e32 v8, v1, v7
	v_mul_f32_e32 v7, v0, v7
	v_fmac_f32_e32 v8, v0, v6
	v_fma_f32 v6, v6, v1, -v7
	v_cvt_f64_f32_e32 v[0:1], v8
	v_cvt_f64_f32_e32 v[6:7], v6
	v_mul_f64 v[0:1], v[0:1], s[0:1]
	v_mul_f64 v[6:7], v[6:7], s[0:1]
	v_cvt_f32_f64_e32 v0, v[0:1]
	v_cvt_f32_f64_e32 v1, v[6:7]
	v_add_co_u32 v6, vcc_lo, 0x2800, v13
	v_add_co_ci_u32_e32 v7, vcc_lo, 0, v14, vcc_lo
	global_store_dwordx2 v[4:5], v[0:1], off
	global_load_dwordx2 v[0:1], v[6:7], off offset:512
	v_add_co_u32 v4, vcc_lo, v4, s3
	v_add_co_ci_u32_e32 v5, vcc_lo, s2, v5, vcc_lo
	s_waitcnt vmcnt(0)
	v_mul_f32_e32 v8, v3, v1
	v_mul_f32_e32 v1, v2, v1
	v_fmac_f32_e32 v8, v2, v0
	v_fma_f32 v2, v0, v3, -v1
	v_cvt_f64_f32_e32 v[0:1], v8
	v_cvt_f64_f32_e32 v[2:3], v2
	v_mul_f64 v[0:1], v[0:1], s[0:1]
	v_mul_f64 v[2:3], v[2:3], s[0:1]
	v_cvt_f32_f64_e32 v0, v[0:1]
	v_cvt_f32_f64_e32 v1, v[2:3]
	global_store_dwordx2 v[4:5], v[0:1], off
	global_load_dwordx2 v[6:7], v[6:7], off offset:1280
	v_add_nc_u32_e32 v0, 0x2c00, v124
	v_add_co_u32 v4, vcc_lo, v4, s3
	v_add_co_ci_u32_e32 v5, vcc_lo, s2, v5, vcc_lo
	ds_read2_b64 v[0:3], v0 offset0:32 offset1:128
	s_waitcnt vmcnt(0) lgkmcnt(0)
	v_mul_f32_e32 v8, v1, v7
	v_mul_f32_e32 v7, v0, v7
	v_fmac_f32_e32 v8, v0, v6
	v_fma_f32 v6, v6, v1, -v7
	v_cvt_f64_f32_e32 v[0:1], v8
	v_cvt_f64_f32_e32 v[6:7], v6
	v_mul_f64 v[0:1], v[0:1], s[0:1]
	v_mul_f64 v[6:7], v[6:7], s[0:1]
	v_cvt_f32_f64_e32 v0, v[0:1]
	v_cvt_f32_f64_e32 v1, v[6:7]
	v_lshlrev_b32_e32 v6, 3, v238
	global_store_dwordx2 v[4:5], v[0:1], off
	global_load_dwordx2 v[0:1], v6, s[12:13]
	s_waitcnt vmcnt(0)
	v_mul_f32_e32 v4, v3, v1
	v_mul_f32_e32 v1, v2, v1
	v_fmac_f32_e32 v4, v2, v0
	v_fma_f32 v2, v0, v3, -v1
	v_cvt_f64_f32_e32 v[0:1], v4
	v_cvt_f64_f32_e32 v[2:3], v2
	v_mad_u64_u32 v[4:5], null, s4, v238, 0
	v_mad_u64_u32 v[5:6], null, s5, v238, v[5:6]
	v_mul_f64 v[0:1], v[0:1], s[0:1]
	v_mul_f64 v[2:3], v[2:3], s[0:1]
	v_cvt_f32_f64_e32 v0, v[0:1]
	v_cvt_f32_f64_e32 v1, v[2:3]
	v_lshlrev_b64 v[2:3], 3, v[4:5]
	v_add_co_u32 v2, vcc_lo, v11, v2
	v_add_co_ci_u32_e32 v3, vcc_lo, v12, v3, vcc_lo
	global_store_dwordx2 v[2:3], v[0:1], off
.LBB0_23:
	s_endpgm
	.section	.rodata,"a",@progbits
	.p2align	6, 0x0
	.amdhsa_kernel bluestein_single_back_len1632_dim1_sp_op_CI_CI
		.amdhsa_group_segment_fixed_size 13056
		.amdhsa_private_segment_fixed_size 96
		.amdhsa_kernarg_size 104
		.amdhsa_user_sgpr_count 6
		.amdhsa_user_sgpr_private_segment_buffer 1
		.amdhsa_user_sgpr_dispatch_ptr 0
		.amdhsa_user_sgpr_queue_ptr 0
		.amdhsa_user_sgpr_kernarg_segment_ptr 1
		.amdhsa_user_sgpr_dispatch_id 0
		.amdhsa_user_sgpr_flat_scratch_init 0
		.amdhsa_user_sgpr_private_segment_size 0
		.amdhsa_wavefront_size32 1
		.amdhsa_uses_dynamic_stack 0
		.amdhsa_system_sgpr_private_segment_wavefront_offset 1
		.amdhsa_system_sgpr_workgroup_id_x 1
		.amdhsa_system_sgpr_workgroup_id_y 0
		.amdhsa_system_sgpr_workgroup_id_z 0
		.amdhsa_system_sgpr_workgroup_info 0
		.amdhsa_system_vgpr_workitem_id 0
		.amdhsa_next_free_vgpr 256
		.amdhsa_next_free_sgpr 24
		.amdhsa_reserve_vcc 1
		.amdhsa_reserve_flat_scratch 0
		.amdhsa_float_round_mode_32 0
		.amdhsa_float_round_mode_16_64 0
		.amdhsa_float_denorm_mode_32 3
		.amdhsa_float_denorm_mode_16_64 3
		.amdhsa_dx10_clamp 1
		.amdhsa_ieee_mode 1
		.amdhsa_fp16_overflow 0
		.amdhsa_workgroup_processor_mode 1
		.amdhsa_memory_ordered 1
		.amdhsa_forward_progress 0
		.amdhsa_shared_vgpr_count 0
		.amdhsa_exception_fp_ieee_invalid_op 0
		.amdhsa_exception_fp_denorm_src 0
		.amdhsa_exception_fp_ieee_div_zero 0
		.amdhsa_exception_fp_ieee_overflow 0
		.amdhsa_exception_fp_ieee_underflow 0
		.amdhsa_exception_fp_ieee_inexact 0
		.amdhsa_exception_int_div_zero 0
	.end_amdhsa_kernel
	.text
.Lfunc_end0:
	.size	bluestein_single_back_len1632_dim1_sp_op_CI_CI, .Lfunc_end0-bluestein_single_back_len1632_dim1_sp_op_CI_CI
                                        ; -- End function
	.section	.AMDGPU.csdata,"",@progbits
; Kernel info:
; codeLenInByte = 23640
; NumSgprs: 26
; NumVgprs: 256
; ScratchSize: 96
; MemoryBound: 0
; FloatMode: 240
; IeeeMode: 1
; LDSByteSize: 13056 bytes/workgroup (compile time only)
; SGPRBlocks: 3
; VGPRBlocks: 31
; NumSGPRsForWavesPerEU: 26
; NumVGPRsForWavesPerEU: 256
; Occupancy: 4
; WaveLimiterHint : 1
; COMPUTE_PGM_RSRC2:SCRATCH_EN: 1
; COMPUTE_PGM_RSRC2:USER_SGPR: 6
; COMPUTE_PGM_RSRC2:TRAP_HANDLER: 0
; COMPUTE_PGM_RSRC2:TGID_X_EN: 1
; COMPUTE_PGM_RSRC2:TGID_Y_EN: 0
; COMPUTE_PGM_RSRC2:TGID_Z_EN: 0
; COMPUTE_PGM_RSRC2:TIDIG_COMP_CNT: 0
	.text
	.p2alignl 6, 3214868480
	.fill 48, 4, 3214868480
	.type	__hip_cuid_10d15c7a15423dfc,@object ; @__hip_cuid_10d15c7a15423dfc
	.section	.bss,"aw",@nobits
	.globl	__hip_cuid_10d15c7a15423dfc
__hip_cuid_10d15c7a15423dfc:
	.byte	0                               ; 0x0
	.size	__hip_cuid_10d15c7a15423dfc, 1

	.ident	"AMD clang version 19.0.0git (https://github.com/RadeonOpenCompute/llvm-project roc-6.4.0 25133 c7fe45cf4b819c5991fe208aaa96edf142730f1d)"
	.section	".note.GNU-stack","",@progbits
	.addrsig
	.addrsig_sym __hip_cuid_10d15c7a15423dfc
	.amdgpu_metadata
---
amdhsa.kernels:
  - .args:
      - .actual_access:  read_only
        .address_space:  global
        .offset:         0
        .size:           8
        .value_kind:     global_buffer
      - .actual_access:  read_only
        .address_space:  global
        .offset:         8
        .size:           8
        .value_kind:     global_buffer
      - .actual_access:  read_only
        .address_space:  global
        .offset:         16
        .size:           8
        .value_kind:     global_buffer
      - .actual_access:  read_only
        .address_space:  global
        .offset:         24
        .size:           8
        .value_kind:     global_buffer
      - .actual_access:  read_only
        .address_space:  global
        .offset:         32
        .size:           8
        .value_kind:     global_buffer
      - .offset:         40
        .size:           8
        .value_kind:     by_value
      - .address_space:  global
        .offset:         48
        .size:           8
        .value_kind:     global_buffer
      - .address_space:  global
        .offset:         56
        .size:           8
        .value_kind:     global_buffer
      - .address_space:  global
        .offset:         64
        .size:           8
        .value_kind:     global_buffer
      - .address_space:  global
        .offset:         72
        .size:           8
        .value_kind:     global_buffer
      - .offset:         80
        .size:           4
        .value_kind:     by_value
      - .address_space:  global
        .offset:         88
        .size:           8
        .value_kind:     global_buffer
      - .address_space:  global
        .offset:         96
        .size:           8
        .value_kind:     global_buffer
    .group_segment_fixed_size: 13056
    .kernarg_segment_align: 8
    .kernarg_segment_size: 104
    .language:       OpenCL C
    .language_version:
      - 2
      - 0
    .max_flat_workgroup_size: 102
    .name:           bluestein_single_back_len1632_dim1_sp_op_CI_CI
    .private_segment_fixed_size: 96
    .sgpr_count:     26
    .sgpr_spill_count: 0
    .symbol:         bluestein_single_back_len1632_dim1_sp_op_CI_CI.kd
    .uniform_work_group_size: 1
    .uses_dynamic_stack: false
    .vgpr_count:     256
    .vgpr_spill_count: 23
    .wavefront_size: 32
    .workgroup_processor_mode: 1
amdhsa.target:   amdgcn-amd-amdhsa--gfx1030
amdhsa.version:
  - 1
  - 2
...

	.end_amdgpu_metadata
